;; amdgpu-corpus repo=ROCm/rocFFT kind=compiled arch=gfx1201 opt=O3
	.text
	.amdgcn_target "amdgcn-amd-amdhsa--gfx1201"
	.amdhsa_code_object_version 6
	.protected	bluestein_single_fwd_len1100_dim1_dp_op_CI_CI ; -- Begin function bluestein_single_fwd_len1100_dim1_dp_op_CI_CI
	.globl	bluestein_single_fwd_len1100_dim1_dp_op_CI_CI
	.p2align	8
	.type	bluestein_single_fwd_len1100_dim1_dp_op_CI_CI,@function
bluestein_single_fwd_len1100_dim1_dp_op_CI_CI: ; @bluestein_single_fwd_len1100_dim1_dp_op_CI_CI
; %bb.0:
	s_load_b128 s[16:19], s[0:1], 0x28
	v_mul_u32_u24_e32 v1, 0x254, v0
	s_mov_b32 s2, exec_lo
	v_mov_b32_e32 v189, 0
	s_delay_alu instid0(VALU_DEP_2) | instskip(NEXT) | instid1(VALU_DEP_1)
	v_lshrrev_b32_e32 v1, 16, v1
	v_add_nc_u32_e32 v188, ttmp9, v1
	s_wait_kmcnt 0x0
	s_delay_alu instid0(VALU_DEP_1)
	v_cmpx_gt_u64_e64 s[16:17], v[188:189]
	s_cbranch_execz .LBB0_10
; %bb.1:
	s_clause 0x1
	s_load_b128 s[4:7], s[0:1], 0x18
	s_load_b128 s[8:11], s[0:1], 0x0
	v_mul_lo_u16 v1, 0x6e, v1
	s_load_b64 s[0:1], s[0:1], 0x38
	s_delay_alu instid0(VALU_DEP_1) | instskip(NEXT) | instid1(VALU_DEP_1)
	v_sub_nc_u16 v44, v0, v1
	v_and_b32_e32 v195, 0xffff, v44
	s_wait_kmcnt 0x0
	s_load_b128 s[12:15], s[4:5], 0x0
	s_movk_i32 s4, 0xe480
	s_mov_b32 s5, -1
	s_wait_kmcnt 0x0
	v_mad_co_u64_u32 v[12:13], null, s12, v195, 0
	v_mad_co_u64_u32 v[0:1], null, s14, v188, 0
	s_mul_u64 s[2:3], s[12:13], 0x2260
	s_mul_u64 s[4:5], s[12:13], s[4:5]
	s_delay_alu instid0(VALU_DEP_2) | instskip(SKIP_3) | instid1(VALU_DEP_4)
	v_dual_mov_b32 v2, v13 :: v_dual_and_b32 v125, 1, v195
	v_lshlrev_b32_e32 v199, 5, v195
	v_lshlrev_b32_e32 v196, 4, v195
	;; [unrolled: 1-line block ×3, first 2 shown]
	v_mad_co_u64_u32 v[3:4], null, s15, v188, v[1:2]
	s_delay_alu instid0(VALU_DEP_2) | instskip(SKIP_2) | instid1(VALU_DEP_4)
	v_add_nc_u32_e32 v126, 0x1b8, v124
	v_add_nc_u32_e32 v127, 0x294, v124
	;; [unrolled: 1-line block ×3, first 2 shown]
	v_mad_co_u64_u32 v[4:5], null, s13, v195, v[2:3]
	v_mov_b32_e32 v1, v3
	v_lshlrev_b32_e32 v207, 4, v126
	v_lshlrev_b32_e32 v206, 4, v127
	;; [unrolled: 1-line block ×3, first 2 shown]
	s_delay_alu instid0(VALU_DEP_4)
	v_lshlrev_b64_e32 v[14:15], 4, v[0:1]
	v_mov_b32_e32 v13, v4
	s_clause 0x2
	global_load_b128 v[0:3], v196, s[8:9] offset:8800
	global_load_b128 v[4:7], v196, s[8:9]
	global_load_b128 v[8:11], v196, s[8:9] offset:1760
	v_lshlrev_b64_e32 v[20:21], 4, v[12:13]
	v_add_co_u32 v22, vcc_lo, s18, v14
	v_add_co_ci_u32_e32 v23, vcc_lo, s19, v15, vcc_lo
	s_clause 0x1
	global_load_b128 v[12:15], v196, s[8:9] offset:10560
	global_load_b128 v[16:19], v196, s[8:9] offset:12320
	v_add_co_u32 v32, vcc_lo, v22, v20
	s_wait_alu 0xfffd
	v_add_co_ci_u32_e32 v33, vcc_lo, v23, v21, vcc_lo
	s_clause 0x1
	global_load_b128 v[20:23], v196, s[8:9] offset:3520
	global_load_b128 v[24:27], v196, s[8:9] offset:5280
	v_add_co_u32 v34, vcc_lo, v32, s2
	s_wait_alu 0xfffd
	v_add_co_ci_u32_e32 v35, vcc_lo, s3, v33, vcc_lo
	global_load_b128 v[28:31], v196, s[8:9] offset:14080
	v_add_co_u32 v36, vcc_lo, v34, s4
	s_wait_alu 0xfffd
	v_add_co_ci_u32_e32 v37, vcc_lo, s5, v35, vcc_lo
	s_clause 0x1
	global_load_b128 v[40:43], v[32:33], off
	global_load_b128 v[45:48], v[34:35], off
	v_add_co_u32 v38, vcc_lo, v36, s2
	s_wait_alu 0xfffd
	v_add_co_ci_u32_e32 v39, vcc_lo, s3, v37, vcc_lo
	s_clause 0x1
	global_load_b128 v[49:52], v[36:37], off
	global_load_b128 v[53:56], v[38:39], off
	v_add_co_u32 v57, vcc_lo, v38, s4
	s_wait_alu 0xfffd
	v_add_co_ci_u32_e32 v58, vcc_lo, s5, v39, vcc_lo
	s_delay_alu instid0(VALU_DEP_2) | instskip(SKIP_1) | instid1(VALU_DEP_2)
	v_add_co_u32 v32, vcc_lo, v57, s2
	s_wait_alu 0xfffd
	v_add_co_ci_u32_e32 v33, vcc_lo, s3, v58, vcc_lo
	global_load_b128 v[57:60], v[57:58], off
	v_add_co_u32 v34, vcc_lo, v32, s4
	s_wait_alu 0xfffd
	v_add_co_ci_u32_e32 v35, vcc_lo, s5, v33, vcc_lo
	global_load_b128 v[61:64], v[32:33], off
	;; [unrolled: 4-line block ×3, first 2 shown]
	v_add_co_u32 v38, vcc_lo, v36, s4
	s_wait_alu 0xfffd
	v_add_co_ci_u32_e32 v39, vcc_lo, s5, v37, vcc_lo
	s_delay_alu instid0(VALU_DEP_2) | instskip(SKIP_1) | instid1(VALU_DEP_2)
	v_add_co_u32 v77, vcc_lo, v38, s2
	s_wait_alu 0xfffd
	v_add_co_ci_u32_e32 v78, vcc_lo, s3, v39, vcc_lo
	global_load_b128 v[69:72], v[36:37], off
	global_load_b128 v[32:35], v196, s[8:9] offset:7040
	global_load_b128 v[73:76], v[38:39], off
	global_load_b128 v[36:39], v196, s[8:9] offset:15840
	global_load_b128 v[77:80], v[77:78], off
	s_load_b128 s[4:7], s[6:7], 0x0
	v_add_co_u32 v209, s2, 0x6e, v195
	v_cmp_gt_u16_e32 vcc_lo, 0x64, v44
	s_delay_alu instid0(VALU_DEP_2) | instskip(SKIP_1) | instid1(VALU_DEP_1)
	v_lshlrev_b32_e32 v208, 5, v209
	v_lshlrev_b32_e32 v44, 1, v209
	v_and_or_b32 v44, 0x1fc, v44, v125
	s_delay_alu instid0(VALU_DEP_1)
	v_lshlrev_b32_e32 v203, 4, v44
	s_wait_loadcnt 0xb
	v_mul_f64_e32 v[81:82], v[42:43], v[6:7]
	v_mul_f64_e32 v[83:84], v[40:41], v[6:7]
	s_wait_loadcnt 0xa
	v_mul_f64_e32 v[85:86], v[47:48], v[2:3]
	v_mul_f64_e32 v[87:88], v[45:46], v[2:3]
	;; [unrolled: 3-line block ×10, first 2 shown]
	v_fma_f64 v[40:41], v[40:41], v[4:5], v[81:82]
	v_fma_f64 v[42:43], v[42:43], v[4:5], -v[83:84]
	v_fma_f64 v[45:46], v[45:46], v[0:1], v[85:86]
	v_fma_f64 v[47:48], v[47:48], v[0:1], -v[87:88]
	v_lshlrev_b32_e32 v82, 4, v125
	v_fma_f64 v[49:50], v[49:50], v[8:9], v[89:90]
	v_fma_f64 v[51:52], v[51:52], v[8:9], -v[91:92]
	v_fma_f64 v[53:54], v[53:54], v[12:13], v[93:94]
	v_fma_f64 v[55:56], v[55:56], v[12:13], -v[95:96]
	s_wait_alu 0xf1ff
	v_add_co_ci_u32_e64 v81, null, 0, 0, s2
	v_lshlrev_b32_e32 v81, 4, v124
	v_add_co_u32 v152, s2, s8, v196
	s_wait_alu 0xf1ff
	v_add_co_ci_u32_e64 v153, null, s9, 0, s2
	v_fma_f64 v[57:58], v[57:58], v[20:21], v[97:98]
	v_fma_f64 v[59:60], v[59:60], v[20:21], -v[99:100]
	v_fma_f64 v[61:62], v[61:62], v[16:17], v[101:102]
	v_fma_f64 v[63:64], v[63:64], v[16:17], -v[103:104]
	;; [unrolled: 2-line block ×6, first 2 shown]
	ds_store_b128 v196, v[40:43]
	ds_store_b128 v196, v[49:52] offset:1760
	ds_store_b128 v196, v[53:56] offset:10560
	;; [unrolled: 1-line block ×9, first 2 shown]
	global_wb scope:SCOPE_SE
	s_wait_dscnt 0x0
	s_wait_kmcnt 0x0
	s_barrier_signal -1
	s_barrier_wait -1
	global_inv scope:SCOPE_SE
	ds_load_b128 v[40:43], v196 offset:8800
	ds_load_b128 v[45:48], v196
	ds_load_b128 v[49:52], v196 offset:1760
	ds_load_b128 v[53:56], v196 offset:10560
	;; [unrolled: 1-line block ×8, first 2 shown]
	global_wb scope:SCOPE_SE
	s_wait_dscnt 0x0
	s_barrier_signal -1
	s_barrier_wait -1
	global_inv scope:SCOPE_SE
	v_add_f64_e64 v[40:41], v[45:46], -v[40:41]
	v_add_f64_e64 v[42:43], v[47:48], -v[42:43]
	;; [unrolled: 1-line block ×10, first 2 shown]
	v_fma_f64 v[45:46], v[45:46], 2.0, -v[40:41]
	v_fma_f64 v[47:48], v[47:48], 2.0, -v[42:43]
	;; [unrolled: 1-line block ×10, first 2 shown]
	ds_store_b128 v199, v[45:48]
	ds_store_b128 v199, v[40:43] offset:16
	ds_store_b128 v208, v[49:52]
	ds_store_b128 v208, v[53:56] offset:16
	ds_store_b128 v81, v[61:64] offset:7040
	;; [unrolled: 1-line block ×7, first 2 shown]
	global_wb scope:SCOPE_SE
	s_wait_dscnt 0x0
	s_barrier_signal -1
	s_barrier_wait -1
	global_inv scope:SCOPE_SE
	global_load_b128 v[40:43], v82, s[10:11]
	ds_load_b128 v[45:48], v196 offset:8800
	ds_load_b128 v[49:52], v196 offset:10560
	;; [unrolled: 1-line block ×6, first 2 shown]
	s_wait_loadcnt_dscnt 0x5
	v_mul_f64_e32 v[69:70], v[47:48], v[42:43]
	v_mul_f64_e32 v[71:72], v[45:46], v[42:43]
	s_wait_dscnt 0x4
	v_mul_f64_e32 v[73:74], v[51:52], v[42:43]
	v_mul_f64_e32 v[75:76], v[49:50], v[42:43]
	s_wait_dscnt 0x3
	;; [unrolled: 3-line block ×4, first 2 shown]
	v_mul_f64_e32 v[85:86], v[63:64], v[42:43]
	v_mul_f64_e32 v[87:88], v[61:62], v[42:43]
	v_fma_f64 v[69:70], v[45:46], v[40:41], -v[69:70]
	v_fma_f64 v[71:72], v[47:48], v[40:41], v[71:72]
	v_fma_f64 v[73:74], v[49:50], v[40:41], -v[73:74]
	v_fma_f64 v[75:76], v[51:52], v[40:41], v[75:76]
	;; [unrolled: 2-line block ×5, first 2 shown]
	ds_load_b128 v[45:48], v196
	ds_load_b128 v[49:52], v196 offset:1760
	ds_load_b128 v[53:56], v196 offset:3520
	;; [unrolled: 1-line block ×3, first 2 shown]
	global_wb scope:SCOPE_SE
	s_wait_dscnt 0x0
	s_barrier_signal -1
	s_barrier_wait -1
	global_inv scope:SCOPE_SE
	v_add_f64_e64 v[92:93], v[45:46], -v[69:70]
	v_add_f64_e64 v[94:95], v[47:48], -v[71:72]
	;; [unrolled: 1-line block ×10, first 2 shown]
	v_fma_f64 v[84:85], v[45:46], 2.0, -v[92:93]
	v_fma_f64 v[86:87], v[47:48], 2.0, -v[94:95]
	;; [unrolled: 1-line block ×10, first 2 shown]
	v_and_or_b32 v45, 0xfc, v124, v125
	v_and_or_b32 v46, 0x3fc, v126, v125
	;; [unrolled: 1-line block ×4, first 2 shown]
                                        ; implicit-def: $vgpr124_vgpr125
	s_delay_alu instid0(VALU_DEP_4) | instskip(NEXT) | instid1(VALU_DEP_4)
	v_lshlrev_b32_e32 v204, 4, v45
	v_lshlrev_b32_e32 v202, 4, v46
	s_delay_alu instid0(VALU_DEP_4) | instskip(NEXT) | instid1(VALU_DEP_4)
	v_lshlrev_b32_e32 v201, 4, v47
	v_lshlrev_b32_e32 v200, 4, v48
	ds_store_b128 v204, v[84:87]
	ds_store_b128 v204, v[92:95] offset:32
	ds_store_b128 v203, v[112:115]
	ds_store_b128 v203, v[96:99] offset:32
	;; [unrolled: 2-line block ×5, first 2 shown]
	global_wb scope:SCOPE_SE
	s_wait_dscnt 0x0
	s_barrier_signal -1
	s_barrier_wait -1
	global_inv scope:SCOPE_SE
	s_and_saveexec_b32 s2, vcc_lo
	s_cbranch_execz .LBB0_3
; %bb.2:
	ds_load_b128 v[84:87], v196
	ds_load_b128 v[92:95], v196 offset:1600
	ds_load_b128 v[112:115], v196 offset:3200
	;; [unrolled: 1-line block ×10, first 2 shown]
.LBB0_3:
	s_wait_alu 0xfffe
	s_or_b32 exec_lo, exec_lo, s2
	v_and_b32_e32 v197, 3, v195
	s_mov_b32 s2, 0xf8bb580b
	s_mov_b32 s3, 0xbfe14ced
	;; [unrolled: 1-line block ×4, first 2 shown]
	v_mad_co_u64_u32 v[76:77], null, 0xa0, v197, s[10:11]
	s_mov_b32 s13, 0x3feaeb8c
	s_mov_b32 s15, 0xbfed1bb4
	;; [unrolled: 1-line block ×6, first 2 shown]
	s_clause 0x9
	global_load_b128 v[44:47], v[76:77], off offset:32
	global_load_b128 v[48:51], v[76:77], off offset:176
	;; [unrolled: 1-line block ×10, first 2 shown]
	s_mov_b32 s20, 0x640f44db
	s_mov_b32 s26, 0xbb3a28a1
	;; [unrolled: 1-line block ×10, first 2 shown]
	v_lshrrev_b32_e32 v198, 2, v195
	global_wb scope:SCOPE_SE
	s_wait_loadcnt_dscnt 0x0
	s_barrier_signal -1
	s_barrier_wait -1
	global_inv scope:SCOPE_SE
	v_mul_f64_e32 v[128:129], v[94:95], v[46:47]
	v_mul_f64_e32 v[130:131], v[92:93], v[46:47]
	;; [unrolled: 1-line block ×10, first 2 shown]
	v_fma_f64 v[178:179], v[92:93], v[44:45], -v[128:129]
	v_fma_f64 v[180:181], v[94:95], v[44:45], v[130:131]
	v_fma_f64 v[94:95], v[126:127], v[48:49], v[132:133]
	v_fma_f64 v[92:93], v[124:125], v[48:49], -v[134:135]
	v_mul_f64_e32 v[128:129], v[98:99], v[66:67]
	v_mul_f64_e32 v[130:131], v[96:97], v[66:67]
	;; [unrolled: 1-line block ×4, first 2 shown]
	v_fma_f64 v[124:125], v[112:113], v[52:53], -v[136:137]
	v_fma_f64 v[126:127], v[114:115], v[52:53], v[138:139]
	v_fma_f64 v[114:115], v[122:123], v[56:57], v[142:143]
	v_fma_f64 v[112:113], v[120:121], v[56:57], -v[140:141]
	v_mul_f64_e32 v[136:137], v[106:107], v[74:75]
	v_mul_f64_e32 v[138:139], v[104:105], v[74:75]
	;; [unrolled: 1-line block ×4, first 2 shown]
	v_add_f64_e64 v[182:183], v[180:181], -v[94:95]
	v_add_f64_e64 v[186:187], v[178:179], -v[92:93]
	v_fma_f64 v[120:121], v[96:97], v[64:65], -v[128:129]
	v_fma_f64 v[122:123], v[98:99], v[64:65], v[130:131]
	v_fma_f64 v[96:97], v[116:117], v[60:61], -v[132:133]
	v_fma_f64 v[98:99], v[118:119], v[60:61], v[134:135]
	v_add_f64_e32 v[184:185], v[178:179], v[92:93]
	v_add_f64_e32 v[189:190], v[180:181], v[94:95]
	v_add_f64_e64 v[144:145], v[126:127], -v[114:115]
	v_add_f64_e64 v[134:135], v[124:125], -v[112:113]
	v_mul_f64_e32 v[116:117], v[90:91], v[82:83]
	v_mul_f64_e32 v[118:119], v[88:89], v[82:83]
	v_fma_f64 v[128:129], v[104:105], v[72:73], -v[136:137]
	v_fma_f64 v[130:131], v[106:107], v[72:73], v[138:139]
	v_fma_f64 v[104:105], v[108:109], v[68:69], -v[140:141]
	v_fma_f64 v[106:107], v[110:111], v[68:69], v[142:143]
	v_add_f64_e32 v[110:111], v[124:125], v[112:113]
	v_add_f64_e32 v[132:133], v[126:127], v[114:115]
	s_wait_alu 0xfffe
	v_mul_f64_e32 v[191:192], s[2:3], v[182:183]
	v_mul_f64_e32 v[193:194], s[2:3], v[186:187]
	v_add_f64_e64 v[142:143], v[120:121], -v[96:97]
	v_add_f64_e64 v[158:159], v[122:123], -v[98:99]
	v_add_f64_e32 v[140:141], v[122:123], v[98:99]
	v_mul_f64_e32 v[136:137], s[14:15], v[144:145]
	v_mul_f64_e32 v[138:139], s[14:15], v[134:135]
	v_fma_f64 v[88:89], v[88:89], v[80:81], -v[116:117]
	v_fma_f64 v[108:109], v[90:91], v[80:81], v[118:119]
	v_fma_f64 v[90:91], v[100:101], v[76:77], -v[146:147]
	v_fma_f64 v[100:101], v[102:103], v[76:77], v[148:149]
	v_add_f64_e32 v[102:103], v[120:121], v[96:97]
	v_add_f64_e64 v[156:157], v[128:129], -v[104:105]
	v_add_f64_e64 v[172:173], v[130:131], -v[106:107]
	v_fma_f64 v[150:151], v[184:185], s[12:13], v[191:192]
	v_fma_f64 v[154:155], v[189:190], s[12:13], -v[193:194]
	v_mul_f64_e32 v[148:149], s[18:19], v[142:143]
	v_mul_f64_e32 v[146:147], s[18:19], v[158:159]
	v_fma_f64 v[116:117], v[110:111], s[16:17], v[136:137]
	v_fma_f64 v[118:119], v[132:133], s[16:17], -v[138:139]
	v_add_f64_e64 v[174:175], v[88:89], -v[90:91]
	v_add_f64_e64 v[176:177], v[108:109], -v[100:101]
	v_mul_f64_e32 v[162:163], s[26:27], v[156:157]
	v_mul_f64_e32 v[160:161], s[26:27], v[172:173]
	v_add_f64_e32 v[164:165], v[84:85], v[150:151]
	v_add_f64_e32 v[166:167], v[86:87], v[154:155]
	;; [unrolled: 1-line block ×4, first 2 shown]
	v_fma_f64 v[212:213], v[140:141], s[20:21], -v[148:149]
	v_fma_f64 v[210:211], v[102:103], s[20:21], v[146:147]
	v_mul_f64_e32 v[170:171], s[28:29], v[174:175]
	v_mul_f64_e32 v[168:169], s[28:29], v[176:177]
	v_add_f64_e32 v[116:117], v[116:117], v[164:165]
	v_add_f64_e32 v[118:119], v[118:119], v[166:167]
	v_add_f64_e32 v[164:165], v[88:89], v[90:91]
	v_add_f64_e32 v[166:167], v[108:109], v[100:101]
	v_fma_f64 v[214:215], v[150:151], s[22:23], v[160:161]
	v_fma_f64 v[216:217], v[154:155], s[22:23], -v[162:163]
	v_add_f64_e32 v[116:117], v[210:211], v[116:117]
	v_add_f64_e32 v[118:119], v[212:213], v[118:119]
	v_fma_f64 v[210:211], v[164:165], s[24:25], v[168:169]
	v_fma_f64 v[212:213], v[166:167], s[24:25], -v[170:171]
	s_delay_alu instid0(VALU_DEP_4) | instskip(NEXT) | instid1(VALU_DEP_4)
	v_add_f64_e32 v[116:117], v[214:215], v[116:117]
	v_add_f64_e32 v[118:119], v[216:217], v[118:119]
	s_delay_alu instid0(VALU_DEP_2) | instskip(NEXT) | instid1(VALU_DEP_2)
	v_add_f64_e32 v[116:117], v[210:211], v[116:117]
	v_add_f64_e32 v[118:119], v[212:213], v[118:119]
	s_and_saveexec_b32 s33, vcc_lo
	s_cbranch_execz .LBB0_5
; %bb.4:
	v_mul_f64_e32 v[210:211], s[24:25], v[189:190]
	v_mul_f64_e32 v[214:215], s[22:23], v[189:190]
	;; [unrolled: 1-line block ×5, first 2 shown]
	s_mov_b32 s39, 0x3fefac9e
	s_mov_b32 s38, s18
	;; [unrolled: 1-line block ×8, first 2 shown]
	v_mul_f64_e32 v[226:227], s[18:19], v[182:183]
	v_add_f64_e32 v[238:239], v[84:85], v[178:179]
	v_add_f64_e32 v[236:237], v[86:87], v[180:181]
	s_mov_b32 s41, 0x3fe14ced
	s_mov_b32 s40, s2
	v_mul_f64_e32 v[244:245], s[20:21], v[166:167]
	v_mul_f64_e32 v[246:247], s[18:19], v[176:177]
	;; [unrolled: 1-line block ×5, first 2 shown]
	v_fma_f64 v[212:213], v[186:187], s[36:37], v[210:211]
	v_fma_f64 v[210:211], v[186:187], s[28:29], v[210:211]
	;; [unrolled: 1-line block ×8, first 2 shown]
	v_add_f64_e32 v[189:190], v[193:194], v[189:190]
	v_mul_f64_e32 v[193:194], s[28:29], v[182:183]
	v_mul_f64_e32 v[222:223], s[26:27], v[182:183]
	;; [unrolled: 1-line block ×3, first 2 shown]
	v_fma_f64 v[232:233], v[184:185], s[20:21], -v[226:227]
	v_fma_f64 v[226:227], v[184:185], s[20:21], v[226:227]
	v_add_f64_e32 v[178:179], v[86:87], v[212:213]
	v_add_f64_e32 v[214:215], v[86:87], v[214:215]
	;; [unrolled: 1-line block ×5, first 2 shown]
	v_fma_f64 v[228:229], v[184:185], s[24:25], v[193:194]
	v_fma_f64 v[193:194], v[184:185], s[24:25], -v[193:194]
	v_fma_f64 v[230:231], v[184:185], s[22:23], v[222:223]
	v_fma_f64 v[222:223], v[184:185], s[22:23], -v[222:223]
	v_fma_f64 v[234:235], v[184:185], s[16:17], -v[182:183]
	v_fma_f64 v[182:183], v[184:185], s[16:17], v[182:183]
	v_mul_f64_e32 v[184:185], s[12:13], v[184:185]
	v_add_f64_e32 v[226:227], v[84:85], v[226:227]
	v_add_f64_e32 v[180:181], v[84:85], v[228:229]
	v_add_f64_e32 v[193:194], v[84:85], v[193:194]
	v_add_f64_e32 v[212:213], v[84:85], v[230:231]
	v_add_f64_e32 v[228:229], v[84:85], v[232:233]
	v_add_f64_e32 v[232:233], v[86:87], v[189:190]
	v_add_f64_e32 v[230:231], v[84:85], v[182:183]
	v_add_f64_e64 v[184:185], v[184:185], -v[191:192]
	v_mul_f64_e32 v[182:183], s[12:13], v[132:133]
	v_add_f64_e32 v[191:192], v[86:87], v[210:211]
	v_add_f64_e32 v[210:211], v[86:87], v[216:217]
	;; [unrolled: 1-line block ×6, first 2 shown]
	v_fma_f64 v[84:85], v[134:135], s[2:3], v[182:183]
	v_fma_f64 v[182:183], v[134:135], s[40:41], v[182:183]
	s_delay_alu instid0(VALU_DEP_2) | instskip(SKIP_1) | instid1(VALU_DEP_3)
	v_add_f64_e32 v[84:85], v[84:85], v[178:179]
	v_mul_f64_e32 v[178:179], s[40:41], v[144:145]
	v_add_f64_e32 v[182:183], v[182:183], v[191:192]
	v_mul_f64_e32 v[191:192], s[38:39], v[144:145]
	s_delay_alu instid0(VALU_DEP_3) | instskip(SKIP_1) | instid1(VALU_DEP_2)
	v_fma_f64 v[86:87], v[110:111], s[12:13], v[178:179]
	v_fma_f64 v[178:179], v[110:111], s[12:13], -v[178:179]
	v_add_f64_e32 v[86:87], v[86:87], v[180:181]
	v_mul_f64_e32 v[180:181], s[22:23], v[140:141]
	s_delay_alu instid0(VALU_DEP_3) | instskip(SKIP_1) | instid1(VALU_DEP_3)
	v_add_f64_e32 v[178:179], v[178:179], v[193:194]
	v_mul_f64_e32 v[193:194], s[12:13], v[140:141]
	v_fma_f64 v[184:185], v[142:143], s[30:31], v[180:181]
	v_fma_f64 v[180:181], v[142:143], s[26:27], v[180:181]
	s_delay_alu instid0(VALU_DEP_2) | instskip(SKIP_1) | instid1(VALU_DEP_3)
	v_add_f64_e32 v[84:85], v[184:185], v[84:85]
	v_mul_f64_e32 v[184:185], s[26:27], v[158:159]
	v_add_f64_e32 v[180:181], v[180:181], v[182:183]
	s_delay_alu instid0(VALU_DEP_2) | instskip(SKIP_2) | instid1(VALU_DEP_3)
	v_fma_f64 v[189:190], v[102:103], s[22:23], v[184:185]
	v_fma_f64 v[182:183], v[102:103], s[22:23], -v[184:185]
	v_fma_f64 v[184:185], v[164:165], s[20:21], -v[246:247]
	v_add_f64_e32 v[86:87], v[189:190], v[86:87]
	v_mul_f64_e32 v[189:190], s[16:17], v[154:155]
	s_delay_alu instid0(VALU_DEP_4) | instskip(NEXT) | instid1(VALU_DEP_2)
	v_add_f64_e32 v[178:179], v[182:183], v[178:179]
	v_fma_f64 v[240:241], v[156:157], s[14:15], v[189:190]
	v_fma_f64 v[182:183], v[156:157], s[34:35], v[189:190]
	v_mul_f64_e32 v[189:190], s[20:21], v[132:133]
	s_delay_alu instid0(VALU_DEP_3) | instskip(SKIP_1) | instid1(VALU_DEP_4)
	v_add_f64_e32 v[84:85], v[240:241], v[84:85]
	v_mul_f64_e32 v[240:241], s[34:35], v[172:173]
	v_add_f64_e32 v[180:181], v[182:183], v[180:181]
	s_delay_alu instid0(VALU_DEP_2) | instskip(SKIP_1) | instid1(VALU_DEP_2)
	v_fma_f64 v[182:183], v[150:151], s[16:17], -v[240:241]
	v_fma_f64 v[242:243], v[150:151], s[16:17], v[240:241]
	v_add_f64_e32 v[178:179], v[182:183], v[178:179]
	v_fma_f64 v[182:183], v[174:175], s[18:19], v[244:245]
	s_delay_alu instid0(VALU_DEP_3)
	v_add_f64_e32 v[242:243], v[242:243], v[86:87]
	v_fma_f64 v[86:87], v[174:175], s[38:39], v[244:245]
	v_mul_f64_e32 v[244:245], s[16:17], v[166:167]
	v_add_f64_e32 v[178:179], v[184:185], v[178:179]
	v_add_f64_e32 v[180:181], v[182:183], v[180:181]
	v_fma_f64 v[182:183], v[134:135], s[18:19], v[189:190]
	v_fma_f64 v[184:185], v[110:111], s[20:21], v[191:192]
	;; [unrolled: 1-line block ×3, first 2 shown]
	v_fma_f64 v[191:192], v[110:111], s[20:21], -v[191:192]
	v_add_f64_e32 v[86:87], v[86:87], v[84:85]
	v_fma_f64 v[84:85], v[164:165], s[20:21], v[246:247]
	v_mul_f64_e32 v[246:247], s[34:35], v[176:177]
	v_mul_f64_e32 v[176:177], s[26:27], v[176:177]
	v_add_f64_e32 v[182:183], v[182:183], v[210:211]
	v_fma_f64 v[210:211], v[142:143], s[40:41], v[193:194]
	v_add_f64_e32 v[184:185], v[184:185], v[212:213]
	v_add_f64_e32 v[189:190], v[189:190], v[214:215]
	v_fma_f64 v[193:194], v[142:143], s[2:3], v[193:194]
	v_add_f64_e32 v[191:192], v[191:192], v[216:217]
	v_add_f64_e32 v[84:85], v[84:85], v[242:243]
	;; [unrolled: 1-line block ×3, first 2 shown]
	v_mul_f64_e32 v[210:211], s[2:3], v[158:159]
	v_add_f64_e32 v[189:190], v[193:194], v[189:190]
	s_delay_alu instid0(VALU_DEP_2) | instskip(SKIP_2) | instid1(VALU_DEP_3)
	v_fma_f64 v[212:213], v[102:103], s[12:13], v[210:211]
	v_fma_f64 v[193:194], v[102:103], s[12:13], -v[210:211]
	v_fma_f64 v[210:211], v[164:165], s[16:17], -v[246:247]
	v_add_f64_e32 v[184:185], v[212:213], v[184:185]
	v_mul_f64_e32 v[212:213], s[24:25], v[154:155]
	s_delay_alu instid0(VALU_DEP_4) | instskip(NEXT) | instid1(VALU_DEP_2)
	v_add_f64_e32 v[191:192], v[193:194], v[191:192]
	v_fma_f64 v[240:241], v[156:157], s[36:37], v[212:213]
	v_fma_f64 v[193:194], v[156:157], s[28:29], v[212:213]
	s_delay_alu instid0(VALU_DEP_2) | instskip(SKIP_1) | instid1(VALU_DEP_3)
	v_add_f64_e32 v[182:183], v[240:241], v[182:183]
	v_mul_f64_e32 v[240:241], s[28:29], v[172:173]
	v_add_f64_e32 v[189:190], v[193:194], v[189:190]
	s_delay_alu instid0(VALU_DEP_2) | instskip(SKIP_3) | instid1(VALU_DEP_4)
	v_fma_f64 v[193:194], v[150:151], s[24:25], -v[240:241]
	v_fma_f64 v[242:243], v[150:151], s[24:25], v[240:241]
	v_mul_f64_e32 v[240:241], s[36:37], v[158:159]
	v_mul_f64_e32 v[158:159], s[34:35], v[158:159]
	v_add_f64_e32 v[193:194], v[193:194], v[191:192]
	v_fma_f64 v[191:192], v[174:175], s[34:35], v[244:245]
	v_add_f64_e32 v[242:243], v[242:243], v[184:185]
	v_fma_f64 v[184:185], v[174:175], s[14:15], v[244:245]
	v_mul_f64_e32 v[244:245], s[38:39], v[172:173]
	v_mul_f64_e32 v[172:173], s[2:3], v[172:173]
	v_add_f64_e32 v[191:192], v[191:192], v[189:190]
	v_add_f64_e32 v[189:190], v[210:211], v[193:194]
	v_mul_f64_e32 v[193:194], s[22:23], v[132:133]
	v_add_f64_e32 v[184:185], v[184:185], v[182:183]
	v_fma_f64 v[182:183], v[164:165], s[16:17], v[246:247]
	v_mul_f64_e32 v[246:247], s[12:13], v[166:167]
	v_mul_f64_e32 v[132:133], s[16:17], v[132:133]
	v_fma_f64 v[210:211], v[134:135], s[26:27], v[193:194]
	s_delay_alu instid0(VALU_DEP_4) | instskip(SKIP_1) | instid1(VALU_DEP_4)
	v_add_f64_e32 v[182:183], v[182:183], v[242:243]
	v_mul_f64_e32 v[242:243], s[20:21], v[154:155]
	v_add_f64_e32 v[132:133], v[138:139], v[132:133]
	v_mul_f64_e32 v[138:139], s[22:23], v[150:151]
	;; [unrolled: 2-line block ×3, first 2 shown]
	v_mul_f64_e32 v[144:145], s[36:37], v[144:145]
	v_add_f64_e32 v[132:133], v[132:133], v[232:233]
	v_add_f64_e64 v[138:139], v[138:139], -v[160:161]
	s_delay_alu instid0(VALU_DEP_4) | instskip(NEXT) | instid1(VALU_DEP_4)
	v_fma_f64 v[212:213], v[110:111], s[22:23], -v[222:223]
	v_fma_f64 v[216:217], v[110:111], s[24:25], -v[144:145]
	v_fma_f64 v[144:145], v[110:111], s[24:25], v[144:145]
	s_delay_alu instid0(VALU_DEP_3) | instskip(SKIP_1) | instid1(VALU_DEP_4)
	v_add_f64_e32 v[212:213], v[212:213], v[224:225]
	v_mul_f64_e32 v[224:225], s[24:25], v[140:141]
	v_add_f64_e32 v[216:217], v[216:217], v[228:229]
	s_delay_alu instid0(VALU_DEP_4) | instskip(NEXT) | instid1(VALU_DEP_3)
	v_add_f64_e32 v[144:145], v[144:145], v[226:227]
	v_fma_f64 v[214:215], v[142:143], s[36:37], v[224:225]
	s_delay_alu instid0(VALU_DEP_1) | instskip(SKIP_1) | instid1(VALU_DEP_1)
	v_add_f64_e32 v[210:211], v[214:215], v[210:211]
	v_fma_f64 v[214:215], v[102:103], s[24:25], -v[240:241]
	v_add_f64_e32 v[212:213], v[214:215], v[212:213]
	v_fma_f64 v[214:215], v[156:157], s[38:39], v[242:243]
	s_delay_alu instid0(VALU_DEP_1) | instskip(SKIP_1) | instid1(VALU_DEP_1)
	v_add_f64_e32 v[210:211], v[214:215], v[210:211]
	v_fma_f64 v[214:215], v[150:151], s[20:21], -v[244:245]
	;; [unrolled: 5-line block ×3, first 2 shown]
	v_add_f64_e32 v[210:211], v[210:211], v[214:215]
	v_fma_f64 v[214:215], v[134:135], s[36:37], v[250:251]
	v_fma_f64 v[250:251], v[134:135], s[28:29], v[250:251]
	v_fma_f64 v[134:135], v[134:135], s[30:31], v[193:194]
	s_delay_alu instid0(VALU_DEP_3) | instskip(SKIP_1) | instid1(VALU_DEP_4)
	v_add_f64_e32 v[214:215], v[214:215], v[220:221]
	v_mul_f64_e32 v[220:221], s[16:17], v[140:141]
	v_add_f64_e32 v[218:219], v[250:251], v[218:219]
	s_delay_alu instid0(VALU_DEP_4) | instskip(NEXT) | instid1(VALU_DEP_3)
	v_add_f64_e32 v[134:135], v[134:135], v[186:187]
	v_fma_f64 v[228:229], v[142:143], s[34:35], v[220:221]
	v_fma_f64 v[220:221], v[142:143], s[14:15], v[220:221]
	;; [unrolled: 1-line block ×3, first 2 shown]
	s_delay_alu instid0(VALU_DEP_3)
	v_add_f64_e32 v[214:215], v[228:229], v[214:215]
	v_fma_f64 v[228:229], v[102:103], s[16:17], -v[158:159]
	v_fma_f64 v[158:159], v[102:103], s[16:17], v[158:159]
	v_add_f64_e32 v[218:219], v[220:221], v[218:219]
	v_add_f64_e32 v[134:135], v[142:143], v[134:135]
	v_fma_f64 v[142:143], v[102:103], s[24:25], v[240:241]
	v_mul_f64_e32 v[102:103], s[20:21], v[102:103]
	v_add_f64_e32 v[216:217], v[228:229], v[216:217]
	v_mul_f64_e32 v[228:229], s[12:13], v[154:155]
	v_add_f64_e32 v[144:145], v[158:159], v[144:145]
	s_delay_alu instid0(VALU_DEP_4) | instskip(NEXT) | instid1(VALU_DEP_3)
	v_add_f64_e64 v[102:103], v[102:103], -v[146:147]
	v_fma_f64 v[252:253], v[156:157], s[2:3], v[228:229]
	v_fma_f64 v[158:159], v[156:157], s[40:41], v[228:229]
	s_delay_alu instid0(VALU_DEP_2) | instskip(SKIP_2) | instid1(VALU_DEP_4)
	v_add_f64_e32 v[214:215], v[252:253], v[214:215]
	v_fma_f64 v[252:253], v[150:151], s[12:13], -v[172:173]
	v_fma_f64 v[172:173], v[150:151], s[12:13], v[172:173]
	v_add_f64_e32 v[158:159], v[158:159], v[218:219]
	s_delay_alu instid0(VALU_DEP_3) | instskip(SKIP_1) | instid1(VALU_DEP_4)
	v_add_f64_e32 v[252:253], v[252:253], v[216:217]
	v_fma_f64 v[216:217], v[174:175], s[26:27], v[254:255]
	v_add_f64_e32 v[144:145], v[172:173], v[144:145]
	v_fma_f64 v[172:173], v[174:175], s[30:31], v[254:255]
	s_delay_alu instid0(VALU_DEP_3) | instskip(SKIP_2) | instid1(VALU_DEP_4)
	v_add_f64_e32 v[216:217], v[216:217], v[214:215]
	v_fma_f64 v[214:215], v[164:165], s[22:23], -v[176:177]
	v_fma_f64 v[176:177], v[164:165], s[22:23], v[176:177]
	v_add_f64_e32 v[220:221], v[172:173], v[158:159]
	v_fma_f64 v[158:159], v[110:111], s[22:23], v[222:223]
	v_mul_f64_e32 v[110:111], s[16:17], v[110:111]
	v_add_f64_e32 v[214:215], v[214:215], v[252:253]
	v_add_f64_e32 v[218:219], v[176:177], v[144:145]
	v_fma_f64 v[144:145], v[156:157], s[18:19], v[242:243]
	v_add_f64_e32 v[158:159], v[158:159], v[230:231]
	v_fma_f64 v[156:157], v[174:175], s[2:3], v[246:247]
	v_add_f64_e64 v[110:111], v[110:111], -v[136:137]
	v_mul_f64_e32 v[136:137], s[22:23], v[154:155]
	v_add_f64_e32 v[134:135], v[144:145], v[134:135]
	v_add_f64_e32 v[142:143], v[142:143], v[158:159]
	v_fma_f64 v[144:145], v[150:151], s[20:21], v[244:245]
	v_add_f64_e32 v[110:111], v[110:111], v[234:235]
	v_add_f64_e32 v[136:137], v[162:163], v[136:137]
	v_fma_f64 v[158:159], v[164:165], s[12:13], v[248:249]
	s_delay_alu instid0(VALU_DEP_4)
	v_add_f64_e32 v[142:143], v[144:145], v[142:143]
	v_add_f64_e32 v[144:145], v[156:157], v[134:135]
	v_mul_f64_e32 v[134:135], s[20:21], v[140:141]
	v_add_f64_e32 v[102:103], v[102:103], v[110:111]
	v_mul_f64_e32 v[110:111], s[24:25], v[166:167]
	v_add_f64_e32 v[142:143], v[158:159], v[142:143]
	s_delay_alu instid0(VALU_DEP_4) | instskip(NEXT) | instid1(VALU_DEP_4)
	v_add_f64_e32 v[134:135], v[148:149], v[134:135]
	v_add_f64_e32 v[102:103], v[138:139], v[102:103]
	s_delay_alu instid0(VALU_DEP_4) | instskip(NEXT) | instid1(VALU_DEP_3)
	v_add_f64_e32 v[110:111], v[170:171], v[110:111]
	v_add_f64_e32 v[132:133], v[134:135], v[132:133]
	v_mul_f64_e32 v[134:135], s[24:25], v[164:165]
	s_delay_alu instid0(VALU_DEP_2) | instskip(NEXT) | instid1(VALU_DEP_2)
	v_add_f64_e32 v[132:133], v[136:137], v[132:133]
	v_add_f64_e64 v[140:141], v[134:135], -v[168:169]
	s_delay_alu instid0(VALU_DEP_2) | instskip(NEXT) | instid1(VALU_DEP_2)
	v_add_f64_e32 v[134:135], v[110:111], v[132:133]
	v_add_f64_e32 v[132:133], v[140:141], v[102:103]
	;; [unrolled: 1-line block ×4, first 2 shown]
	s_delay_alu instid0(VALU_DEP_2) | instskip(NEXT) | instid1(VALU_DEP_2)
	v_add_f64_e32 v[102:103], v[102:103], v[122:123]
	v_add_f64_e32 v[110:111], v[110:111], v[120:121]
	s_delay_alu instid0(VALU_DEP_2) | instskip(NEXT) | instid1(VALU_DEP_2)
	v_add_f64_e32 v[102:103], v[102:103], v[130:131]
	v_add_f64_e32 v[110:111], v[110:111], v[128:129]
	;; [unrolled: 3-line block ×8, first 2 shown]
	v_mul_u32_u24_e32 v92, 44, v198
	s_delay_alu instid0(VALU_DEP_1) | instskip(NEXT) | instid1(VALU_DEP_1)
	v_or_b32_e32 v92, v92, v197
	v_lshlrev_b32_e32 v92, 4, v92
	ds_store_b128 v92, v[210:213] offset:128
	ds_store_b128 v92, v[214:217] offset:192
	;; [unrolled: 1-line block ×9, first 2 shown]
	ds_store_b128 v92, v[88:91]
	ds_store_b128 v92, v[116:119] offset:640
.LBB0_5:
	s_or_b32 exec_lo, exec_lo, s33
	v_and_b32_e32 v84, 0xff, v195
	global_wb scope:SCOPE_SE
	s_wait_dscnt 0x0
	s_barrier_signal -1
	s_barrier_wait -1
	global_inv scope:SCOPE_SE
	v_mul_lo_u16 v84, 0xbb, v84
	s_mov_b32 s14, 0x134454ff
	s_mov_b32 s15, 0x3fee6f0e
	s_mov_b32 s17, 0xbfee6f0e
	s_wait_alu 0xfffe
	s_mov_b32 s16, s14
	v_lshrrev_b16 v121, 13, v84
	s_mov_b32 s2, 0x4755a5e
	s_mov_b32 s3, 0x3fe2cf23
	;; [unrolled: 1-line block ×3, first 2 shown]
	s_wait_alu 0xfffe
	s_mov_b32 s12, s2
	v_mul_lo_u16 v84, v121, 44
	s_mov_b32 s18, 0x372fe950
	s_mov_b32 s19, 0x3fd3c6ef
	v_and_b32_e32 v121, 0xffff, v121
	s_delay_alu instid0(VALU_DEP_2) | instskip(NEXT) | instid1(VALU_DEP_2)
	v_sub_nc_u16 v84, v195, v84
	v_mul_u32_u24_e32 v121, 0xdc, v121
	s_delay_alu instid0(VALU_DEP_2) | instskip(NEXT) | instid1(VALU_DEP_1)
	v_and_b32_e32 v120, 0xff, v84
	v_lshlrev_b32_e32 v100, 6, v120
	s_delay_alu instid0(VALU_DEP_3)
	v_add_lshl_u32 v192, v121, v120, 4
	s_clause 0x1
	global_load_b128 v[84:87], v100, s[10:11] offset:672
	global_load_b128 v[88:91], v100, s[10:11] offset:688
	ds_load_b128 v[92:95], v196 offset:3520
	ds_load_b128 v[124:127], v196 offset:5280
	s_wait_loadcnt_dscnt 0x101
	v_mul_f64_e32 v[96:97], v[94:95], v[86:87]
	v_mul_f64_e32 v[98:99], v[92:93], v[86:87]
	s_delay_alu instid0(VALU_DEP_2) | instskip(NEXT) | instid1(VALU_DEP_2)
	v_fma_f64 v[140:141], v[92:93], v[84:85], -v[96:97]
	v_fma_f64 v[142:143], v[94:95], v[84:85], v[98:99]
	ds_load_b128 v[92:95], v196 offset:7040
	ds_load_b128 v[108:111], v196 offset:8800
	s_wait_loadcnt_dscnt 0x1
	v_mul_f64_e32 v[96:97], v[94:95], v[90:91]
	s_delay_alu instid0(VALU_DEP_1) | instskip(SKIP_1) | instid1(VALU_DEP_1)
	v_fma_f64 v[144:145], v[92:93], v[88:89], -v[96:97]
	v_mul_f64_e32 v[92:93], v[92:93], v[90:91]
	v_fma_f64 v[146:147], v[94:95], v[88:89], v[92:93]
	s_clause 0x1
	global_load_b128 v[96:99], v100, s[10:11] offset:704
	global_load_b128 v[92:95], v100, s[10:11] offset:720
	ds_load_b128 v[100:103], v196 offset:10560
	ds_load_b128 v[128:131], v196 offset:12320
	s_wait_loadcnt_dscnt 0x101
	v_mul_f64_e32 v[104:105], v[102:103], v[98:99]
	s_delay_alu instid0(VALU_DEP_1) | instskip(SKIP_1) | instid1(VALU_DEP_2)
	v_fma_f64 v[148:149], v[100:101], v[96:97], -v[104:105]
	v_mul_f64_e32 v[100:101], v[100:101], v[98:99]
	v_add_f64_e64 v[184:185], v[144:145], -v[148:149]
	s_delay_alu instid0(VALU_DEP_2)
	v_fma_f64 v[150:151], v[102:103], v[96:97], v[100:101]
	ds_load_b128 v[100:103], v196 offset:14080
	ds_load_b128 v[132:135], v196 offset:15840
	s_wait_loadcnt_dscnt 0x1
	v_mul_f64_e32 v[104:105], v[102:103], v[94:95]
	v_add_f64_e64 v[180:181], v[146:147], -v[150:151]
	s_delay_alu instid0(VALU_DEP_2) | instskip(SKIP_1) | instid1(VALU_DEP_2)
	v_fma_f64 v[154:155], v[100:101], v[92:93], -v[104:105]
	v_mul_f64_e32 v[100:101], v[100:101], v[94:95]
	v_add_f64_e64 v[182:183], v[140:141], -v[154:155]
	s_delay_alu instid0(VALU_DEP_2) | instskip(SKIP_1) | instid1(VALU_DEP_1)
	v_fma_f64 v[156:157], v[102:103], v[92:93], v[100:101]
	v_and_b32_e32 v100, 0xff, v209
	v_mul_lo_u16 v100, 0xbb, v100
	s_delay_alu instid0(VALU_DEP_1) | instskip(NEXT) | instid1(VALU_DEP_1)
	v_lshrrev_b16 v122, 13, v100
	v_mul_lo_u16 v100, v122, 44
	v_and_b32_e32 v120, 0xffff, v122
	s_delay_alu instid0(VALU_DEP_2) | instskip(NEXT) | instid1(VALU_DEP_2)
	v_sub_nc_u16 v100, v209, v100
	v_mul_u32_u24_e32 v120, 0xdc, v120
	s_delay_alu instid0(VALU_DEP_2) | instskip(NEXT) | instid1(VALU_DEP_1)
	v_and_b32_e32 v123, 0xff, v100
	v_lshlrev_b32_e32 v136, 6, v123
	s_clause 0x1
	global_load_b128 v[104:107], v136, s[10:11] offset:688
	global_load_b128 v[100:103], v136, s[10:11] offset:672
	v_add_lshl_u32 v191, v120, v123, 4
	v_add_f64_e64 v[178:179], v[142:143], -v[156:157]
	s_wait_loadcnt 0x1
	v_mul_f64_e32 v[112:113], v[110:111], v[106:107]
	s_delay_alu instid0(VALU_DEP_1) | instskip(SKIP_1) | instid1(VALU_DEP_1)
	v_fma_f64 v[158:159], v[108:109], v[104:105], -v[112:113]
	v_mul_f64_e32 v[108:109], v[108:109], v[106:107]
	v_fma_f64 v[160:161], v[110:111], v[104:105], v[108:109]
	s_clause 0x1
	global_load_b128 v[112:115], v136, s[10:11] offset:704
	global_load_b128 v[108:111], v136, s[10:11] offset:720
	s_wait_loadcnt 0x1
	v_mul_f64_e32 v[136:137], v[130:131], v[114:115]
	s_delay_alu instid0(VALU_DEP_1) | instskip(SKIP_1) | instid1(VALU_DEP_1)
	v_fma_f64 v[162:163], v[128:129], v[112:113], -v[136:137]
	v_mul_f64_e32 v[128:129], v[128:129], v[114:115]
	v_fma_f64 v[164:165], v[130:131], v[112:113], v[128:129]
	v_mul_f64_e32 v[128:129], v[126:127], v[102:103]
	s_delay_alu instid0(VALU_DEP_1) | instskip(SKIP_1) | instid1(VALU_DEP_1)
	v_fma_f64 v[166:167], v[124:125], v[100:101], -v[128:129]
	v_mul_f64_e32 v[124:125], v[124:125], v[102:103]
	v_fma_f64 v[168:169], v[126:127], v[100:101], v[124:125]
	s_wait_loadcnt_dscnt 0x0
	v_mul_f64_e32 v[124:125], v[134:135], v[110:111]
	v_add_f64_e64 v[126:127], v[154:155], -v[148:149]
	s_delay_alu instid0(VALU_DEP_2) | instskip(SKIP_2) | instid1(VALU_DEP_2)
	v_fma_f64 v[170:171], v[132:133], v[108:109], -v[124:125]
	v_mul_f64_e32 v[124:125], v[132:133], v[110:111]
	v_add_f64_e32 v[132:133], v[144:145], v[148:149]
	v_fma_f64 v[172:173], v[134:135], v[108:109], v[124:125]
	v_add_f64_e64 v[124:125], v[140:141], -v[144:145]
	s_delay_alu instid0(VALU_DEP_1) | instskip(SKIP_2) | instid1(VALU_DEP_1)
	v_add_f64_e32 v[136:137], v[124:125], v[126:127]
	v_add_f64_e64 v[124:125], v[142:143], -v[146:147]
	v_add_f64_e64 v[126:127], v[156:157], -v[150:151]
	v_add_f64_e32 v[138:139], v[124:125], v[126:127]
	ds_load_b128 v[124:127], v196
	ds_load_b128 v[128:131], v196 offset:1760
	global_wb scope:SCOPE_SE
	s_wait_dscnt 0x0
	s_barrier_signal -1
	s_barrier_wait -1
	global_inv scope:SCOPE_SE
	v_fma_f64 v[174:175], v[132:133], -0.5, v[124:125]
	v_add_f64_e32 v[132:133], v[146:147], v[150:151]
	s_delay_alu instid0(VALU_DEP_1) | instskip(NEXT) | instid1(VALU_DEP_3)
	v_fma_f64 v[176:177], v[132:133], -0.5, v[126:127]
	v_fma_f64 v[132:133], v[178:179], s[14:15], v[174:175]
	v_fma_f64 v[174:175], v[178:179], s[16:17], v[174:175]
	s_delay_alu instid0(VALU_DEP_3) | instskip(SKIP_1) | instid1(VALU_DEP_4)
	v_fma_f64 v[134:135], v[182:183], s[16:17], v[176:177]
	v_fma_f64 v[176:177], v[182:183], s[14:15], v[176:177]
	;; [unrolled: 1-line block ×3, first 2 shown]
	s_wait_alu 0xfffe
	s_delay_alu instid0(VALU_DEP_4) | instskip(NEXT) | instid1(VALU_DEP_4)
	v_fma_f64 v[174:175], v[180:181], s[12:13], v[174:175]
	v_fma_f64 v[134:135], v[184:185], s[12:13], v[134:135]
	s_delay_alu instid0(VALU_DEP_4) | instskip(NEXT) | instid1(VALU_DEP_4)
	v_fma_f64 v[176:177], v[184:185], s[2:3], v[176:177]
	v_fma_f64 v[132:133], v[136:137], s[18:19], v[132:133]
	s_delay_alu instid0(VALU_DEP_4) | instskip(SKIP_4) | instid1(VALU_DEP_4)
	v_fma_f64 v[136:137], v[136:137], s[18:19], v[174:175]
	v_add_f64_e32 v[174:175], v[140:141], v[154:155]
	v_fma_f64 v[134:135], v[138:139], s[18:19], v[134:135]
	v_fma_f64 v[138:139], v[138:139], s[18:19], v[176:177]
	v_add_f64_e32 v[176:177], v[142:143], v[156:157]
	v_fma_f64 v[174:175], v[174:175], -0.5, v[124:125]
	v_add_f64_e32 v[124:125], v[124:125], v[140:141]
	v_add_f64_e64 v[140:141], v[144:145], -v[140:141]
	s_delay_alu instid0(VALU_DEP_4) | instskip(SKIP_4) | instid1(VALU_DEP_4)
	v_fma_f64 v[176:177], v[176:177], -0.5, v[126:127]
	v_add_f64_e32 v[126:127], v[126:127], v[142:143]
	v_add_f64_e64 v[142:143], v[146:147], -v[142:143]
	v_add_f64_e32 v[124:125], v[124:125], v[144:145]
	v_add_f64_e64 v[144:145], v[148:149], -v[154:155]
	;; [unrolled: 2-line block ×3, first 2 shown]
	s_delay_alu instid0(VALU_DEP_4)
	v_add_f64_e32 v[124:125], v[124:125], v[148:149]
	v_fma_f64 v[148:149], v[180:181], s[16:17], v[174:175]
	v_add_f64_e32 v[144:145], v[140:141], v[144:145]
	v_add_f64_e32 v[126:127], v[126:127], v[150:151]
	v_fma_f64 v[150:151], v[180:181], s[14:15], v[174:175]
	v_add_f64_e32 v[124:125], v[124:125], v[154:155]
	v_fma_f64 v[154:155], v[184:185], s[14:15], v[176:177]
	;; [unrolled: 2-line block ×3, first 2 shown]
	v_add_f64_e64 v[180:181], v[168:169], -v[172:173]
	v_add_f64_e32 v[126:127], v[126:127], v[156:157]
	v_fma_f64 v[156:157], v[184:185], s[16:17], v[176:177]
	v_fma_f64 v[148:149], v[178:179], s[12:13], v[150:151]
	;; [unrolled: 1-line block ×3, first 2 shown]
	v_add_f64_e64 v[178:179], v[160:161], -v[164:165]
	v_fma_f64 v[140:141], v[144:145], s[18:19], v[140:141]
	v_add_f64_e64 v[184:185], v[166:167], -v[170:171]
	v_fma_f64 v[150:151], v[182:183], s[2:3], v[156:157]
	v_fma_f64 v[144:145], v[144:145], s[18:19], v[148:149]
	;; [unrolled: 1-line block ×3, first 2 shown]
	v_add_f64_e64 v[148:149], v[158:159], -v[166:167]
	v_add_f64_e64 v[182:183], v[158:159], -v[162:163]
	v_fma_f64 v[146:147], v[146:147], s[18:19], v[150:151]
	v_add_f64_e64 v[150:151], v[162:163], -v[170:171]
	ds_store_b128 v192, v[124:127]
	ds_store_b128 v192, v[132:135] offset:704
	ds_store_b128 v192, v[140:143] offset:1408
	;; [unrolled: 1-line block ×4, first 2 shown]
	v_lshlrev_b32_e32 v136, 6, v195
	v_add_f64_e32 v[154:155], v[148:149], v[150:151]
	v_add_f64_e64 v[148:149], v[160:161], -v[168:169]
	v_add_f64_e64 v[150:151], v[164:165], -v[172:173]
	s_delay_alu instid0(VALU_DEP_1) | instskip(SKIP_1) | instid1(VALU_DEP_1)
	v_add_f64_e32 v[156:157], v[148:149], v[150:151]
	v_add_f64_e32 v[148:149], v[166:167], v[170:171]
	v_fma_f64 v[174:175], v[148:149], -0.5, v[128:129]
	v_add_f64_e32 v[148:149], v[168:169], v[172:173]
	s_delay_alu instid0(VALU_DEP_1) | instskip(NEXT) | instid1(VALU_DEP_3)
	v_fma_f64 v[176:177], v[148:149], -0.5, v[130:131]
	v_fma_f64 v[148:149], v[178:179], s[16:17], v[174:175]
	v_fma_f64 v[174:175], v[178:179], s[14:15], v[174:175]
	s_delay_alu instid0(VALU_DEP_3) | instskip(SKIP_1) | instid1(VALU_DEP_4)
	v_fma_f64 v[150:151], v[182:183], s[14:15], v[176:177]
	v_fma_f64 v[176:177], v[182:183], s[16:17], v[176:177]
	;; [unrolled: 1-line block ×3, first 2 shown]
	s_delay_alu instid0(VALU_DEP_4) | instskip(NEXT) | instid1(VALU_DEP_4)
	v_fma_f64 v[174:175], v[180:181], s[12:13], v[174:175]
	v_fma_f64 v[150:151], v[184:185], s[12:13], v[150:151]
	s_delay_alu instid0(VALU_DEP_4) | instskip(NEXT) | instid1(VALU_DEP_4)
	v_fma_f64 v[176:177], v[184:185], s[2:3], v[176:177]
	v_fma_f64 v[148:149], v[154:155], s[18:19], v[148:149]
	s_delay_alu instid0(VALU_DEP_4) | instskip(SKIP_4) | instid1(VALU_DEP_4)
	v_fma_f64 v[154:155], v[154:155], s[18:19], v[174:175]
	v_add_f64_e32 v[174:175], v[158:159], v[162:163]
	v_fma_f64 v[150:151], v[156:157], s[18:19], v[150:151]
	v_fma_f64 v[156:157], v[156:157], s[18:19], v[176:177]
	v_add_f64_e32 v[176:177], v[160:161], v[164:165]
	v_fma_f64 v[174:175], v[174:175], -0.5, v[128:129]
	v_add_f64_e32 v[128:129], v[128:129], v[166:167]
	v_add_f64_e64 v[166:167], v[166:167], -v[158:159]
	s_delay_alu instid0(VALU_DEP_4) | instskip(SKIP_1) | instid1(VALU_DEP_4)
	v_fma_f64 v[176:177], v[176:177], -0.5, v[130:131]
	v_add_f64_e32 v[130:131], v[130:131], v[168:169]
	v_add_f64_e32 v[128:129], v[128:129], v[158:159]
	v_add_f64_e64 v[158:159], v[168:169], -v[160:161]
	v_fma_f64 v[168:169], v[180:181], s[16:17], v[174:175]
	s_delay_alu instid0(VALU_DEP_4) | instskip(SKIP_3) | instid1(VALU_DEP_4)
	v_add_f64_e32 v[130:131], v[130:131], v[160:161]
	v_add_f64_e64 v[160:161], v[170:171], -v[162:163]
	v_add_f64_e32 v[128:129], v[128:129], v[162:163]
	v_add_f64_e64 v[162:163], v[172:173], -v[164:165]
	v_add_f64_e32 v[130:131], v[130:131], v[164:165]
	v_fma_f64 v[164:165], v[180:181], s[14:15], v[174:175]
	s_delay_alu instid0(VALU_DEP_4)
	v_add_f64_e32 v[128:129], v[128:129], v[170:171]
	v_fma_f64 v[170:171], v[184:185], s[16:17], v[176:177]
	v_add_f64_e32 v[166:167], v[166:167], v[160:161]
	v_add_f64_e32 v[174:175], v[158:159], v[162:163]
	v_fma_f64 v[162:163], v[178:179], s[12:13], v[168:169]
	v_add_f64_e32 v[130:131], v[130:131], v[172:173]
	v_fma_f64 v[172:173], v[184:185], s[14:15], v[176:177]
	v_fma_f64 v[158:159], v[178:179], s[2:3], v[164:165]
	;; [unrolled: 1-line block ×4, first 2 shown]
	s_delay_alu instid0(VALU_DEP_4) | instskip(NEXT) | instid1(VALU_DEP_4)
	v_fma_f64 v[164:165], v[182:183], s[2:3], v[172:173]
	v_fma_f64 v[158:159], v[166:167], s[18:19], v[158:159]
	s_delay_alu instid0(VALU_DEP_4) | instskip(SKIP_1) | instid1(VALU_DEP_4)
	v_fma_f64 v[160:161], v[174:175], s[18:19], v[160:161]
	v_lshlrev_b32_e32 v166, 6, v209
	v_fma_f64 v[164:165], v[174:175], s[18:19], v[164:165]
	ds_store_b128 v191, v[128:131]
	ds_store_b128 v191, v[158:161] offset:704
	ds_store_b128 v191, v[148:151] offset:1408
	;; [unrolled: 1-line block ×4, first 2 shown]
	global_wb scope:SCOPE_SE
	s_wait_dscnt 0x0
	s_barrier_signal -1
	s_barrier_wait -1
	global_inv scope:SCOPE_SE
	s_clause 0x1
	global_load_b128 v[120:123], v136, s[10:11] offset:3488
	global_load_b128 v[124:127], v136, s[10:11] offset:3504
	ds_load_b128 v[128:131], v196 offset:3520
	ds_load_b128 v[154:157], v196 offset:5280
	s_wait_loadcnt_dscnt 0x101
	v_mul_f64_e32 v[132:133], v[130:131], v[122:123]
	s_delay_alu instid0(VALU_DEP_1) | instskip(SKIP_1) | instid1(VALU_DEP_1)
	v_fma_f64 v[170:171], v[128:129], v[120:121], -v[132:133]
	v_mul_f64_e32 v[128:129], v[128:129], v[122:123]
	v_fma_f64 v[172:173], v[130:131], v[120:121], v[128:129]
	ds_load_b128 v[128:131], v196 offset:7040
	ds_load_b128 v[144:147], v196 offset:8800
	s_wait_loadcnt_dscnt 0x1
	v_mul_f64_e32 v[132:133], v[130:131], v[126:127]
	s_delay_alu instid0(VALU_DEP_1) | instskip(SKIP_1) | instid1(VALU_DEP_1)
	v_fma_f64 v[174:175], v[128:129], v[124:125], -v[132:133]
	v_mul_f64_e32 v[128:129], v[128:129], v[126:127]
	v_fma_f64 v[176:177], v[130:131], v[124:125], v[128:129]
	s_clause 0x1
	global_load_b128 v[132:135], v136, s[10:11] offset:3520
	global_load_b128 v[128:131], v136, s[10:11] offset:3536
	ds_load_b128 v[136:139], v196 offset:10560
	ds_load_b128 v[158:161], v196 offset:12320
	s_wait_loadcnt_dscnt 0x101
	v_mul_f64_e32 v[140:141], v[138:139], v[134:135]
	s_delay_alu instid0(VALU_DEP_1) | instskip(SKIP_1) | instid1(VALU_DEP_2)
	v_fma_f64 v[178:179], v[136:137], v[132:133], -v[140:141]
	v_mul_f64_e32 v[136:137], v[136:137], v[134:135]
	v_add_f64_e64 v[229:230], v[174:175], -v[178:179]
	s_delay_alu instid0(VALU_DEP_2)
	v_fma_f64 v[180:181], v[138:139], v[132:133], v[136:137]
	ds_load_b128 v[136:139], v196 offset:14080
	ds_load_b128 v[162:165], v196 offset:15840
	s_wait_loadcnt_dscnt 0x1
	v_mul_f64_e32 v[140:141], v[138:139], v[130:131]
	v_add_f64_e64 v[225:226], v[176:177], -v[180:181]
	s_delay_alu instid0(VALU_DEP_2) | instskip(SKIP_1) | instid1(VALU_DEP_2)
	v_fma_f64 v[182:183], v[136:137], v[128:129], -v[140:141]
	v_mul_f64_e32 v[136:137], v[136:137], v[130:131]
	v_add_f64_e64 v[227:228], v[170:171], -v[182:183]
	s_delay_alu instid0(VALU_DEP_2)
	v_fma_f64 v[184:185], v[138:139], v[128:129], v[136:137]
	s_clause 0x1
	global_load_b128 v[140:143], v166, s[10:11] offset:3504
	global_load_b128 v[136:139], v166, s[10:11] offset:3488
	v_add_f64_e64 v[223:224], v[172:173], -v[184:185]
	s_wait_loadcnt 0x1
	v_mul_f64_e32 v[148:149], v[146:147], v[142:143]
	s_delay_alu instid0(VALU_DEP_1) | instskip(SKIP_1) | instid1(VALU_DEP_1)
	v_fma_f64 v[186:187], v[144:145], v[140:141], -v[148:149]
	v_mul_f64_e32 v[144:145], v[144:145], v[142:143]
	v_fma_f64 v[189:190], v[146:147], v[140:141], v[144:145]
	s_clause 0x1
	global_load_b128 v[148:151], v166, s[10:11] offset:3520
	global_load_b128 v[144:147], v166, s[10:11] offset:3536
	s_wait_loadcnt 0x1
	v_mul_f64_e32 v[166:167], v[160:161], v[150:151]
	s_delay_alu instid0(VALU_DEP_1) | instskip(SKIP_1) | instid1(VALU_DEP_1)
	v_fma_f64 v[193:194], v[158:159], v[148:149], -v[166:167]
	v_mul_f64_e32 v[158:159], v[158:159], v[150:151]
	v_fma_f64 v[209:210], v[160:161], v[148:149], v[158:159]
	v_mul_f64_e32 v[158:159], v[156:157], v[138:139]
	s_delay_alu instid0(VALU_DEP_1) | instskip(SKIP_1) | instid1(VALU_DEP_1)
	v_fma_f64 v[211:212], v[154:155], v[136:137], -v[158:159]
	v_mul_f64_e32 v[154:155], v[154:155], v[138:139]
	v_fma_f64 v[213:214], v[156:157], v[136:137], v[154:155]
	s_wait_loadcnt_dscnt 0x0
	v_mul_f64_e32 v[154:155], v[164:165], v[146:147]
	v_add_f64_e64 v[156:157], v[182:183], -v[178:179]
	s_delay_alu instid0(VALU_DEP_2) | instskip(SKIP_2) | instid1(VALU_DEP_2)
	v_fma_f64 v[215:216], v[162:163], v[144:145], -v[154:155]
	v_mul_f64_e32 v[154:155], v[162:163], v[146:147]
	v_add_f64_e32 v[162:163], v[174:175], v[178:179]
	v_fma_f64 v[217:218], v[164:165], v[144:145], v[154:155]
	v_add_f64_e64 v[154:155], v[170:171], -v[174:175]
	s_delay_alu instid0(VALU_DEP_1) | instskip(SKIP_2) | instid1(VALU_DEP_1)
	v_add_f64_e32 v[166:167], v[154:155], v[156:157]
	v_add_f64_e64 v[154:155], v[172:173], -v[176:177]
	v_add_f64_e64 v[156:157], v[184:185], -v[180:181]
	v_add_f64_e32 v[168:169], v[154:155], v[156:157]
	ds_load_b128 v[154:157], v196
	ds_load_b128 v[158:161], v196 offset:1760
	s_wait_dscnt 0x1
	v_fma_f64 v[219:220], v[162:163], -0.5, v[154:155]
	v_add_f64_e32 v[162:163], v[176:177], v[180:181]
	s_delay_alu instid0(VALU_DEP_1) | instskip(NEXT) | instid1(VALU_DEP_3)
	v_fma_f64 v[221:222], v[162:163], -0.5, v[156:157]
	v_fma_f64 v[162:163], v[223:224], s[14:15], v[219:220]
	v_fma_f64 v[219:220], v[223:224], s[16:17], v[219:220]
	s_delay_alu instid0(VALU_DEP_3) | instskip(SKIP_1) | instid1(VALU_DEP_4)
	v_fma_f64 v[164:165], v[227:228], s[16:17], v[221:222]
	v_fma_f64 v[221:222], v[227:228], s[14:15], v[221:222]
	;; [unrolled: 1-line block ×3, first 2 shown]
	s_delay_alu instid0(VALU_DEP_4) | instskip(NEXT) | instid1(VALU_DEP_4)
	v_fma_f64 v[219:220], v[225:226], s[12:13], v[219:220]
	v_fma_f64 v[164:165], v[229:230], s[12:13], v[164:165]
	s_delay_alu instid0(VALU_DEP_4) | instskip(NEXT) | instid1(VALU_DEP_4)
	v_fma_f64 v[221:222], v[229:230], s[2:3], v[221:222]
	v_fma_f64 v[162:163], v[166:167], s[18:19], v[162:163]
	s_delay_alu instid0(VALU_DEP_4) | instskip(SKIP_4) | instid1(VALU_DEP_4)
	v_fma_f64 v[166:167], v[166:167], s[18:19], v[219:220]
	v_add_f64_e32 v[219:220], v[170:171], v[182:183]
	v_fma_f64 v[164:165], v[168:169], s[18:19], v[164:165]
	v_fma_f64 v[168:169], v[168:169], s[18:19], v[221:222]
	v_add_f64_e32 v[221:222], v[172:173], v[184:185]
	v_fma_f64 v[219:220], v[219:220], -0.5, v[154:155]
	v_add_f64_e32 v[154:155], v[154:155], v[170:171]
	v_add_f64_e64 v[170:171], v[174:175], -v[170:171]
	s_delay_alu instid0(VALU_DEP_4) | instskip(SKIP_4) | instid1(VALU_DEP_4)
	v_fma_f64 v[221:222], v[221:222], -0.5, v[156:157]
	v_add_f64_e32 v[156:157], v[156:157], v[172:173]
	v_add_f64_e64 v[172:173], v[176:177], -v[172:173]
	v_add_f64_e32 v[154:155], v[154:155], v[174:175]
	v_add_f64_e64 v[174:175], v[178:179], -v[182:183]
	;; [unrolled: 2-line block ×3, first 2 shown]
	s_delay_alu instid0(VALU_DEP_4)
	v_add_f64_e32 v[154:155], v[154:155], v[178:179]
	v_fma_f64 v[178:179], v[225:226], s[16:17], v[219:220]
	v_add_f64_e32 v[174:175], v[170:171], v[174:175]
	v_add_f64_e32 v[156:157], v[156:157], v[180:181]
	v_fma_f64 v[180:181], v[225:226], s[14:15], v[219:220]
	v_add_f64_e32 v[154:155], v[154:155], v[182:183]
	v_fma_f64 v[182:183], v[229:230], s[14:15], v[221:222]
	;; [unrolled: 2-line block ×3, first 2 shown]
	v_add_f64_e64 v[225:226], v[213:214], -v[217:218]
	v_add_f64_e32 v[156:157], v[156:157], v[184:185]
	v_fma_f64 v[184:185], v[229:230], s[16:17], v[221:222]
	v_fma_f64 v[178:179], v[223:224], s[12:13], v[180:181]
	;; [unrolled: 1-line block ×3, first 2 shown]
	v_add_f64_e64 v[223:224], v[189:190], -v[209:210]
	v_fma_f64 v[170:171], v[174:175], s[18:19], v[170:171]
	v_add_f64_e64 v[229:230], v[211:212], -v[215:216]
	v_fma_f64 v[180:181], v[227:228], s[2:3], v[184:185]
	v_fma_f64 v[174:175], v[174:175], s[18:19], v[178:179]
	v_fma_f64 v[172:173], v[176:177], s[18:19], v[172:173]
	v_add_f64_e64 v[178:179], v[186:187], -v[211:212]
	v_add_f64_e64 v[227:228], v[186:187], -v[193:194]
	v_fma_f64 v[176:177], v[176:177], s[18:19], v[180:181]
	v_add_f64_e64 v[180:181], v[193:194], -v[215:216]
	s_delay_alu instid0(VALU_DEP_1) | instskip(SKIP_2) | instid1(VALU_DEP_1)
	v_add_f64_e32 v[182:183], v[178:179], v[180:181]
	v_add_f64_e64 v[178:179], v[189:190], -v[213:214]
	v_add_f64_e64 v[180:181], v[209:210], -v[217:218]
	v_add_f64_e32 v[184:185], v[178:179], v[180:181]
	v_add_f64_e32 v[178:179], v[211:212], v[215:216]
	s_wait_dscnt 0x0
	s_delay_alu instid0(VALU_DEP_1) | instskip(SKIP_1) | instid1(VALU_DEP_1)
	v_fma_f64 v[219:220], v[178:179], -0.5, v[158:159]
	v_add_f64_e32 v[178:179], v[213:214], v[217:218]
	v_fma_f64 v[221:222], v[178:179], -0.5, v[160:161]
	s_delay_alu instid0(VALU_DEP_3) | instskip(SKIP_1) | instid1(VALU_DEP_3)
	v_fma_f64 v[178:179], v[223:224], s[16:17], v[219:220]
	v_fma_f64 v[219:220], v[223:224], s[14:15], v[219:220]
	;; [unrolled: 1-line block ×4, first 2 shown]
	s_delay_alu instid0(VALU_DEP_4) | instskip(NEXT) | instid1(VALU_DEP_4)
	v_fma_f64 v[178:179], v[225:226], s[2:3], v[178:179]
	v_fma_f64 v[219:220], v[225:226], s[12:13], v[219:220]
	s_delay_alu instid0(VALU_DEP_4) | instskip(NEXT) | instid1(VALU_DEP_4)
	v_fma_f64 v[180:181], v[229:230], s[12:13], v[180:181]
	v_fma_f64 v[221:222], v[229:230], s[2:3], v[221:222]
	s_delay_alu instid0(VALU_DEP_4) | instskip(NEXT) | instid1(VALU_DEP_4)
	v_fma_f64 v[178:179], v[182:183], s[18:19], v[178:179]
	v_fma_f64 v[182:183], v[182:183], s[18:19], v[219:220]
	v_add_f64_e32 v[219:220], v[186:187], v[193:194]
	v_fma_f64 v[180:181], v[184:185], s[18:19], v[180:181]
	v_fma_f64 v[184:185], v[184:185], s[18:19], v[221:222]
	v_add_f64_e32 v[221:222], v[189:190], v[209:210]
	s_delay_alu instid0(VALU_DEP_4) | instskip(SKIP_2) | instid1(VALU_DEP_4)
	v_fma_f64 v[219:220], v[219:220], -0.5, v[158:159]
	v_add_f64_e32 v[158:159], v[158:159], v[211:212]
	v_add_f64_e64 v[211:212], v[211:212], -v[186:187]
	v_fma_f64 v[221:222], v[221:222], -0.5, v[160:161]
	v_add_f64_e32 v[160:161], v[160:161], v[213:214]
	s_delay_alu instid0(VALU_DEP_4) | instskip(SKIP_2) | instid1(VALU_DEP_4)
	v_add_f64_e32 v[158:159], v[158:159], v[186:187]
	v_add_f64_e64 v[186:187], v[213:214], -v[189:190]
	v_fma_f64 v[213:214], v[225:226], s[16:17], v[219:220]
	v_add_f64_e32 v[160:161], v[160:161], v[189:190]
	v_add_f64_e64 v[189:190], v[215:216], -v[193:194]
	v_add_f64_e32 v[158:159], v[158:159], v[193:194]
	v_add_f64_e64 v[193:194], v[217:218], -v[209:210]
	v_fma_f64 v[213:214], v[223:224], s[12:13], v[213:214]
	v_add_f64_e32 v[160:161], v[160:161], v[209:210]
	v_fma_f64 v[209:210], v[225:226], s[14:15], v[219:220]
	v_add_f64_e32 v[158:159], v[158:159], v[215:216]
	;; [unrolled: 2-line block ×3, first 2 shown]
	v_add_f64_e32 v[186:187], v[186:187], v[193:194]
	v_add_f64_e32 v[160:161], v[160:161], v[217:218]
	v_fma_f64 v[217:218], v[229:230], s[14:15], v[221:222]
	v_fma_f64 v[193:194], v[223:224], s[2:3], v[209:210]
	;; [unrolled: 1-line block ×4, first 2 shown]
	s_delay_alu instid0(VALU_DEP_4) | instskip(NEXT) | instid1(VALU_DEP_4)
	v_fma_f64 v[215:216], v[227:228], s[2:3], v[217:218]
	v_fma_f64 v[209:210], v[189:190], s[18:19], v[193:194]
	s_delay_alu instid0(VALU_DEP_4) | instskip(SKIP_2) | instid1(VALU_DEP_4)
	v_fma_f64 v[211:212], v[186:187], s[18:19], v[211:212]
	v_lshlrev_b32_e32 v193, 4, v195
	s_add_nc_u64 s[2:3], s[8:9], 0x44c0
	v_fma_f64 v[215:216], v[186:187], s[18:19], v[215:216]
	ds_store_b128 v196, v[154:157]
	ds_store_b128 v196, v[158:161] offset:1760
	ds_store_b128 v196, v[162:165] offset:3520
	ds_store_b128 v196, v[209:212] offset:5280
	ds_store_b128 v196, v[170:173] offset:7040
	ds_store_b128 v196, v[178:181] offset:8800
	ds_store_b128 v196, v[174:177] offset:10560
	ds_store_b128 v196, v[182:185] offset:12320
	ds_store_b128 v196, v[166:169] offset:14080
	ds_store_b128 v196, v[213:216] offset:15840
	global_wb scope:SCOPE_SE
	s_wait_dscnt 0x0
	s_barrier_signal -1
	s_barrier_wait -1
	global_inv scope:SCOPE_SE
	global_load_b128 v[152:155], v[152:153], off offset:17600
	ds_load_b128 v[156:159], v196
	ds_load_b128 v[160:163], v196 offset:1760
	ds_load_b128 v[168:171], v196 offset:8800
	;; [unrolled: 1-line block ×3, first 2 shown]
	global_load_b128 v[172:175], v193, s[2:3] offset:10560
	s_wait_loadcnt_dscnt 0x103
	v_mul_f64_e32 v[164:165], v[158:159], v[154:155]
	v_mul_f64_e32 v[166:167], v[156:157], v[154:155]
	s_delay_alu instid0(VALU_DEP_2) | instskip(NEXT) | instid1(VALU_DEP_2)
	v_fma_f64 v[154:155], v[156:157], v[152:153], -v[164:165]
	v_fma_f64 v[156:157], v[158:159], v[152:153], v[166:167]
	s_clause 0x2
	global_load_b128 v[164:167], v193, s[2:3] offset:8800
	global_load_b128 v[180:183], v193, s[2:3] offset:1760
	;; [unrolled: 1-line block ×3, first 2 shown]
	s_wait_loadcnt_dscnt 0x201
	v_mul_f64_e32 v[152:153], v[170:171], v[166:167]
	v_mul_f64_e32 v[158:159], v[168:169], v[166:167]
	s_delay_alu instid0(VALU_DEP_2) | instskip(NEXT) | instid1(VALU_DEP_2)
	v_fma_f64 v[166:167], v[168:169], v[164:165], -v[152:153]
	v_fma_f64 v[168:169], v[170:171], v[164:165], v[158:159]
	s_wait_loadcnt 0x1
	v_mul_f64_e32 v[152:153], v[162:163], v[182:183]
	v_mul_f64_e32 v[164:165], v[160:161], v[182:183]
	s_delay_alu instid0(VALU_DEP_2) | instskip(NEXT) | instid1(VALU_DEP_2)
	v_fma_f64 v[158:159], v[160:161], v[180:181], -v[152:153]
	v_fma_f64 v[160:161], v[162:163], v[180:181], v[164:165]
	ds_load_b128 v[162:165], v196 offset:10560
	ds_load_b128 v[180:183], v196 offset:12320
	s_wait_dscnt 0x1
	v_mul_f64_e32 v[152:153], v[164:165], v[174:175]
	v_mul_f64_e32 v[170:171], v[162:163], v[174:175]
	s_delay_alu instid0(VALU_DEP_2) | instskip(NEXT) | instid1(VALU_DEP_2)
	v_fma_f64 v[162:163], v[162:163], v[172:173], -v[152:153]
	v_fma_f64 v[164:165], v[164:165], v[172:173], v[170:171]
	ds_load_b128 v[170:173], v196 offset:3520
	ds_load_b128 v[209:212], v196 offset:5280
	s_wait_loadcnt_dscnt 0x1
	v_mul_f64_e32 v[152:153], v[172:173], v[186:187]
	v_mul_f64_e32 v[174:175], v[170:171], v[186:187]
	s_delay_alu instid0(VALU_DEP_2) | instskip(NEXT) | instid1(VALU_DEP_2)
	v_fma_f64 v[170:171], v[170:171], v[184:185], -v[152:153]
	v_fma_f64 v[172:173], v[172:173], v[184:185], v[174:175]
	s_clause 0x1
	global_load_b128 v[184:187], v193, s[2:3] offset:12320
	global_load_b128 v[213:216], v193, s[2:3] offset:14080
	s_wait_loadcnt 0x1
	v_mul_f64_e32 v[152:153], v[182:183], v[186:187]
	v_mul_f64_e32 v[174:175], v[180:181], v[186:187]
	s_delay_alu instid0(VALU_DEP_2) | instskip(NEXT) | instid1(VALU_DEP_2)
	v_fma_f64 v[180:181], v[180:181], v[184:185], -v[152:153]
	v_fma_f64 v[182:183], v[182:183], v[184:185], v[174:175]
	s_clause 0x1
	global_load_b128 v[184:187], v193, s[2:3] offset:5280
	global_load_b128 v[217:220], v193, s[2:3] offset:7040
	s_wait_loadcnt_dscnt 0x100
	v_mul_f64_e32 v[152:153], v[211:212], v[186:187]
	v_mul_f64_e32 v[174:175], v[209:210], v[186:187]
	s_wait_loadcnt 0x0
	v_mul_f64_e32 v[189:190], v[176:177], v[219:220]
	s_delay_alu instid0(VALU_DEP_3) | instskip(NEXT) | instid1(VALU_DEP_3)
	v_fma_f64 v[209:210], v[209:210], v[184:185], -v[152:153]
	v_fma_f64 v[211:212], v[211:212], v[184:185], v[174:175]
	ds_load_b128 v[184:187], v196 offset:14080
	ds_load_b128 v[221:224], v196 offset:15840
	s_wait_dscnt 0x1
	v_mul_f64_e32 v[152:153], v[186:187], v[215:216]
	v_mul_f64_e32 v[174:175], v[184:185], v[215:216]
	s_delay_alu instid0(VALU_DEP_2) | instskip(NEXT) | instid1(VALU_DEP_2)
	v_fma_f64 v[184:185], v[184:185], v[213:214], -v[152:153]
	v_fma_f64 v[186:187], v[186:187], v[213:214], v[174:175]
	global_load_b128 v[213:216], v193, s[2:3] offset:15840
	v_mul_f64_e32 v[152:153], v[178:179], v[219:220]
	s_delay_alu instid0(VALU_DEP_1) | instskip(SKIP_4) | instid1(VALU_DEP_2)
	v_fma_f64 v[174:175], v[176:177], v[217:218], -v[152:153]
	v_fma_f64 v[176:177], v[178:179], v[217:218], v[189:190]
	s_wait_loadcnt_dscnt 0x0
	v_mul_f64_e32 v[152:153], v[223:224], v[215:216]
	v_mul_f64_e32 v[178:179], v[221:222], v[215:216]
	v_fma_f64 v[215:216], v[221:222], v[213:214], -v[152:153]
	s_delay_alu instid0(VALU_DEP_2)
	v_fma_f64 v[217:218], v[223:224], v[213:214], v[178:179]
	ds_store_b128 v196, v[154:157]
	ds_store_b128 v196, v[158:161] offset:1760
	ds_store_b128 v196, v[162:165] offset:10560
	ds_store_b128 v196, v[180:183] offset:12320
	ds_store_b128 v196, v[170:173] offset:3520
	ds_store_b128 v196, v[209:212] offset:5280
	ds_store_b128 v196, v[166:169] offset:8800
	ds_store_b128 v196, v[174:177] offset:7040
	ds_store_b128 v196, v[184:187] offset:14080
	ds_store_b128 v196, v[215:218] offset:15840
	global_wb scope:SCOPE_SE
	s_wait_dscnt 0x0
	s_barrier_signal -1
	s_barrier_wait -1
	global_inv scope:SCOPE_SE
	ds_load_b128 v[152:155], v196 offset:8800
	ds_load_b128 v[156:159], v196
	ds_load_b128 v[160:163], v196 offset:1760
	ds_load_b128 v[164:167], v196 offset:7040
	;; [unrolled: 1-line block ×8, first 2 shown]
	global_wb scope:SCOPE_SE
	s_wait_dscnt 0x0
	s_barrier_signal -1
	s_barrier_wait -1
	global_inv scope:SCOPE_SE
	v_add_f64_e64 v[152:153], v[156:157], -v[152:153]
	v_add_f64_e64 v[154:155], v[158:159], -v[154:155]
	s_delay_alu instid0(VALU_DEP_2) | instskip(NEXT) | instid1(VALU_DEP_2)
	v_fma_f64 v[156:157], v[156:157], 2.0, -v[152:153]
	v_fma_f64 v[158:159], v[158:159], 2.0, -v[154:155]
	ds_store_b128 v199, v[152:155] offset:16
	ds_store_b128 v199, v[156:159]
	v_add_f64_e64 v[152:153], v[160:161], -v[168:169]
	v_add_f64_e64 v[154:155], v[162:163], -v[170:171]
	s_delay_alu instid0(VALU_DEP_2) | instskip(NEXT) | instid1(VALU_DEP_2)
	v_fma_f64 v[156:157], v[160:161], 2.0, -v[152:153]
	v_fma_f64 v[158:159], v[162:163], 2.0, -v[154:155]
	ds_store_b128 v208, v[156:159]
	ds_store_b128 v208, v[152:155] offset:16
	v_add_f64_e64 v[152:153], v[176:177], -v[172:173]
	v_add_f64_e64 v[154:155], v[178:179], -v[174:175]
	s_delay_alu instid0(VALU_DEP_2) | instskip(NEXT) | instid1(VALU_DEP_2)
	v_fma_f64 v[156:157], v[176:177], 2.0, -v[152:153]
	v_fma_f64 v[158:159], v[178:179], 2.0, -v[154:155]
	ds_store_b128 v207, v[156:159]
	ds_store_b128 v207, v[152:155] offset:16
	;; [unrolled: 7-line block ×4, first 2 shown]
	global_wb scope:SCOPE_SE
	s_wait_dscnt 0x0
	s_barrier_signal -1
	s_barrier_wait -1
	global_inv scope:SCOPE_SE
	ds_load_b128 v[152:155], v196 offset:8800
	ds_load_b128 v[184:187], v196 offset:7040
	s_wait_dscnt 0x1
	v_mul_f64_e32 v[156:157], v[42:43], v[154:155]
	s_delay_alu instid0(VALU_DEP_1) | instskip(SKIP_1) | instid1(VALU_DEP_1)
	v_fma_f64 v[160:161], v[40:41], v[152:153], v[156:157]
	v_mul_f64_e32 v[152:153], v[42:43], v[152:153]
	v_fma_f64 v[162:163], v[40:41], v[154:155], -v[152:153]
	ds_load_b128 v[152:155], v196 offset:10560
	ds_load_b128 v[156:159], v196 offset:12320
	s_wait_dscnt 0x1
	v_mul_f64_e32 v[164:165], v[42:43], v[154:155]
	s_delay_alu instid0(VALU_DEP_1) | instskip(SKIP_1) | instid1(VALU_DEP_1)
	v_fma_f64 v[164:165], v[40:41], v[152:153], v[164:165]
	v_mul_f64_e32 v[152:153], v[42:43], v[152:153]
	v_fma_f64 v[166:167], v[40:41], v[154:155], -v[152:153]
	s_wait_dscnt 0x0
	v_mul_f64_e32 v[152:153], v[42:43], v[158:159]
	s_delay_alu instid0(VALU_DEP_1) | instskip(SKIP_1) | instid1(VALU_DEP_1)
	v_fma_f64 v[168:169], v[40:41], v[156:157], v[152:153]
	v_mul_f64_e32 v[152:153], v[42:43], v[156:157]
	v_fma_f64 v[170:171], v[40:41], v[158:159], -v[152:153]
	ds_load_b128 v[152:155], v196 offset:14080
	ds_load_b128 v[156:159], v196 offset:15840
	s_wait_dscnt 0x1
	v_mul_f64_e32 v[172:173], v[42:43], v[154:155]
	s_delay_alu instid0(VALU_DEP_1) | instskip(SKIP_1) | instid1(VALU_DEP_1)
	v_fma_f64 v[172:173], v[40:41], v[152:153], v[172:173]
	v_mul_f64_e32 v[152:153], v[42:43], v[152:153]
	v_fma_f64 v[174:175], v[40:41], v[154:155], -v[152:153]
	s_wait_dscnt 0x0
	v_mul_f64_e32 v[152:153], v[42:43], v[158:159]
	v_mul_f64_e32 v[42:43], v[42:43], v[156:157]
	s_delay_alu instid0(VALU_DEP_2) | instskip(NEXT) | instid1(VALU_DEP_2)
	v_fma_f64 v[180:181], v[40:41], v[156:157], v[152:153]
	v_fma_f64 v[182:183], v[40:41], v[158:159], -v[42:43]
	ds_load_b128 v[40:43], v196
	ds_load_b128 v[152:155], v196 offset:1760
	s_wait_dscnt 0x1
	v_add_f64_e64 v[160:161], v[40:41], -v[160:161]
	s_wait_dscnt 0x0
	v_add_f64_e64 v[156:157], v[152:153], -v[164:165]
	v_add_f64_e64 v[158:159], v[154:155], -v[166:167]
	ds_load_b128 v[164:167], v196 offset:3520
	ds_load_b128 v[176:179], v196 offset:5280
	v_add_f64_e64 v[162:163], v[42:43], -v[162:163]
	global_wb scope:SCOPE_SE
	s_wait_dscnt 0x0
	s_barrier_signal -1
	s_barrier_wait -1
	global_inv scope:SCOPE_SE
	v_add_f64_e64 v[180:181], v[184:185], -v[180:181]
	v_add_f64_e64 v[182:183], v[186:187], -v[182:183]
	;; [unrolled: 1-line block ×6, first 2 shown]
	v_fma_f64 v[40:41], v[40:41], 2.0, -v[160:161]
	v_fma_f64 v[152:153], v[152:153], 2.0, -v[156:157]
	;; [unrolled: 1-line block ×10, first 2 shown]
	ds_store_b128 v204, v[160:163] offset:32
	ds_store_b128 v204, v[40:43]
	ds_store_b128 v203, v[152:155]
	ds_store_b128 v203, v[156:159] offset:32
	ds_store_b128 v202, v[164:167]
	ds_store_b128 v202, v[168:171] offset:32
	;; [unrolled: 2-line block ×4, first 2 shown]
	global_wb scope:SCOPE_SE
	s_wait_dscnt 0x0
	s_barrier_signal -1
	s_barrier_wait -1
	global_inv scope:SCOPE_SE
	s_and_saveexec_b32 s2, vcc_lo
	s_cbranch_execz .LBB0_7
; %bb.6:
	ds_load_b128 v[40:43], v196
	ds_load_b128 v[160:163], v196 offset:1600
	ds_load_b128 v[152:155], v196 offset:3200
	;; [unrolled: 1-line block ×10, first 2 shown]
.LBB0_7:
	s_wait_alu 0xfffe
	s_or_b32 exec_lo, exec_lo, s2
	global_wb scope:SCOPE_SE
	s_wait_dscnt 0x0
	s_barrier_signal -1
	s_barrier_wait -1
	global_inv scope:SCOPE_SE
	s_and_saveexec_b32 s30, vcc_lo
	s_cbranch_execz .LBB0_9
; %bb.8:
	v_mul_f64_e32 v[189:190], v[46:47], v[160:161]
	v_mul_f64_e32 v[46:47], v[46:47], v[162:163]
	s_mov_b32 s25, 0x3fed1bb4
	s_mov_b32 s24, 0x8eee2c13
	;; [unrolled: 1-line block ×11, first 2 shown]
	s_wait_alu 0xfffe
	s_mov_b32 s26, s16
	s_mov_b32 s2, 0x640f44db
	;; [unrolled: 1-line block ×15, first 2 shown]
	s_delay_alu instid0(VALU_DEP_2) | instskip(NEXT) | instid1(VALU_DEP_2)
	v_fma_f64 v[189:190], v[44:45], v[162:163], -v[189:190]
	v_fma_f64 v[160:161], v[44:45], v[160:161], v[46:47]
	v_mul_f64_e32 v[44:45], v[82:83], v[170:171]
	v_mul_f64_e32 v[46:47], v[82:83], v[168:169]
	s_delay_alu instid0(VALU_DEP_2) | instskip(NEXT) | instid1(VALU_DEP_2)
	v_fma_f64 v[44:45], v[80:81], v[168:169], v[44:45]
	v_fma_f64 v[80:81], v[80:81], v[170:171], -v[46:47]
	v_mul_f64_e32 v[46:47], v[78:79], v[178:179]
	v_mul_f64_e32 v[78:79], v[78:79], v[176:177]
	s_delay_alu instid0(VALU_DEP_2) | instskip(NEXT) | instid1(VALU_DEP_2)
	v_fma_f64 v[46:47], v[76:77], v[176:177], v[46:47]
	v_fma_f64 v[76:77], v[76:77], v[178:179], -v[78:79]
	v_mul_f64_e32 v[78:79], v[74:75], v[166:167]
	v_mul_f64_e32 v[74:75], v[74:75], v[164:165]
	s_delay_alu instid0(VALU_DEP_4) | instskip(NEXT) | instid1(VALU_DEP_4)
	v_add_f64_e32 v[245:246], v[44:45], v[46:47]
	v_add_f64_e32 v[241:242], v[80:81], v[76:77]
	s_delay_alu instid0(VALU_DEP_4) | instskip(NEXT) | instid1(VALU_DEP_4)
	v_fma_f64 v[78:79], v[72:73], v[164:165], v[78:79]
	v_fma_f64 v[74:75], v[72:73], v[166:167], -v[74:75]
	v_mul_f64_e32 v[72:73], v[70:71], v[174:175]
	v_mul_f64_e32 v[70:71], v[70:71], v[172:173]
	s_delay_alu instid0(VALU_DEP_2) | instskip(NEXT) | instid1(VALU_DEP_2)
	v_fma_f64 v[72:73], v[68:69], v[172:173], v[72:73]
	v_fma_f64 v[68:69], v[68:69], v[174:175], -v[70:71]
	v_mul_f64_e32 v[70:71], v[66:67], v[158:159]
	v_mul_f64_e32 v[66:67], v[66:67], v[156:157]
	v_add_f64_e64 v[172:173], v[44:45], -v[46:47]
	v_add_f64_e64 v[174:175], v[80:81], -v[76:77]
	s_delay_alu instid0(VALU_DEP_4) | instskip(NEXT) | instid1(VALU_DEP_4)
	v_fma_f64 v[70:71], v[64:65], v[156:157], v[70:71]
	v_fma_f64 v[66:67], v[64:65], v[158:159], -v[66:67]
	v_mul_f64_e32 v[64:65], v[62:63], v[186:187]
	v_mul_f64_e32 v[62:63], v[62:63], v[184:185]
	;; [unrolled: 1-line block ×6, first 2 shown]
	v_fma_f64 v[64:65], v[60:61], v[184:185], v[64:65]
	v_fma_f64 v[60:61], v[60:61], v[186:187], -v[62:63]
	v_mul_f64_e32 v[62:63], v[54:55], v[154:155]
	v_mul_f64_e32 v[54:55], v[54:55], v[152:153]
	s_delay_alu instid0(VALU_DEP_4) | instskip(NEXT) | instid1(VALU_DEP_4)
	v_add_f64_e64 v[176:177], v[70:71], -v[64:65]
	v_add_f64_e64 v[178:179], v[66:67], -v[60:61]
	s_delay_alu instid0(VALU_DEP_4) | instskip(NEXT) | instid1(VALU_DEP_4)
	v_fma_f64 v[62:63], v[52:53], v[152:153], v[62:63]
	v_fma_f64 v[82:83], v[52:53], v[154:155], -v[54:55]
	v_mul_f64_e32 v[52:53], v[58:59], v[182:183]
	v_mul_f64_e32 v[54:55], v[58:59], v[180:181]
	v_add_f64_e64 v[58:59], v[74:75], -v[68:69]
	v_mul_f64_e32 v[164:165], s[24:25], v[176:177]
	v_mul_f64_e32 v[166:167], s[24:25], v[178:179]
	;; [unrolled: 1-line block ×4, first 2 shown]
	v_fma_f64 v[52:53], v[56:57], v[180:181], v[52:53]
	v_fma_f64 v[56:57], v[56:57], v[182:183], -v[54:55]
	v_mul_f64_e32 v[54:55], v[50:51], v[118:119]
	v_mul_f64_e32 v[50:51], v[50:51], v[116:117]
	s_delay_alu instid0(VALU_DEP_4) | instskip(NEXT) | instid1(VALU_DEP_4)
	v_add_f64_e64 v[221:222], v[62:63], -v[52:53]
	v_add_f64_e32 v[223:224], v[82:83], v[56:57]
	s_delay_alu instid0(VALU_DEP_4) | instskip(NEXT) | instid1(VALU_DEP_4)
	v_fma_f64 v[54:55], v[48:49], v[116:117], v[54:55]
	v_fma_f64 v[48:49], v[48:49], v[118:119], -v[50:51]
	v_add_f64_e64 v[50:51], v[78:79], -v[72:73]
	v_mul_f64_e32 v[118:119], s[24:25], v[58:59]
	v_add_f64_e64 v[225:226], v[82:83], -v[56:57]
	v_add_f64_e32 v[227:228], v[62:63], v[52:53]
	v_add_f64_e64 v[152:153], v[160:161], -v[54:55]
	v_add_f64_e32 v[180:181], v[189:190], v[48:49]
	v_mul_f64_e32 v[116:117], s[24:25], v[50:51]
	s_mov_b32 s25, 0xbfed1bb4
	v_add_f64_e32 v[209:210], v[160:161], v[54:55]
	s_delay_alu instid0(VALU_DEP_4)
	v_mul_f64_e32 v[154:155], s[22:23], v[152:153]
	v_mul_f64_e32 v[162:163], s[18:19], v[152:153]
	;; [unrolled: 1-line block ×3, first 2 shown]
	s_wait_alu 0xfffe
	v_mul_f64_e32 v[170:171], s[26:27], v[152:153]
	v_mul_f64_e32 v[152:153], s[24:25], v[152:153]
	v_fma_f64 v[182:183], v[180:181], s[12:13], v[154:155]
	v_fma_f64 v[154:155], v[180:181], s[12:13], -v[154:155]
	v_fma_f64 v[184:185], v[180:181], s[10:11], v[162:163]
	v_fma_f64 v[162:163], v[180:181], s[10:11], -v[162:163]
	;; [unrolled: 2-line block ×4, first 2 shown]
	v_fma_f64 v[199:200], v[180:181], s[8:9], -v[152:153]
	v_fma_f64 v[152:153], v[180:181], s[8:9], v[152:153]
	v_add_f64_e64 v[180:181], v[189:190], -v[48:49]
	v_add_f64_e32 v[189:190], v[42:43], v[189:190]
	v_add_f64_e32 v[154:155], v[42:43], v[154:155]
	;; [unrolled: 1-line block ×9, first 2 shown]
	v_mul_f64_e32 v[201:202], s[22:23], v[180:181]
	v_mul_f64_e32 v[203:204], s[18:19], v[180:181]
	;; [unrolled: 1-line block ×5, first 2 shown]
	v_fma_f64 v[211:212], v[209:210], s[12:13], -v[201:202]
	v_fma_f64 v[213:214], v[209:210], s[10:11], -v[203:204]
	;; [unrolled: 1-line block ×3, first 2 shown]
	v_fma_f64 v[217:218], v[209:210], s[14:15], v[207:208]
	v_fma_f64 v[219:220], v[209:210], s[8:9], v[180:181]
	v_fma_f64 v[201:202], v[209:210], s[12:13], v[201:202]
	v_fma_f64 v[203:204], v[209:210], s[10:11], v[203:204]
	v_fma_f64 v[205:206], v[209:210], s[2:3], v[205:206]
	v_fma_f64 v[207:208], v[209:210], s[14:15], -v[207:208]
	v_fma_f64 v[180:181], v[209:210], s[8:9], -v[180:181]
	v_add_f64_e32 v[209:210], v[40:41], v[160:161]
	v_add_f64_e32 v[160:161], v[42:43], v[182:183]
	v_add_f64_e32 v[182:183], v[40:41], v[211:212]
	v_add_f64_e32 v[211:212], v[40:41], v[213:214]
	v_add_f64_e32 v[213:214], v[40:41], v[215:216]
	v_add_f64_e32 v[215:216], v[40:41], v[217:218]
	v_add_f64_e32 v[217:218], v[40:41], v[219:220]
	v_add_f64_e32 v[219:220], v[42:43], v[152:153]
	v_mul_f64_e32 v[152:153], s[16:17], v[221:222]
	v_add_f64_e32 v[201:202], v[40:41], v[201:202]
	v_add_f64_e32 v[203:204], v[40:41], v[203:204]
	;; [unrolled: 1-line block ×5, first 2 shown]
	v_fma_f64 v[40:41], v[223:224], s[14:15], v[152:153]
	v_fma_f64 v[152:153], v[223:224], s[14:15], -v[152:153]
	s_delay_alu instid0(VALU_DEP_2) | instskip(SKIP_1) | instid1(VALU_DEP_3)
	v_add_f64_e32 v[40:41], v[40:41], v[160:161]
	v_mul_f64_e32 v[160:161], s[16:17], v[225:226]
	v_add_f64_e32 v[152:153], v[152:153], v[154:155]
	s_delay_alu instid0(VALU_DEP_2) | instskip(SKIP_1) | instid1(VALU_DEP_2)
	v_fma_f64 v[42:43], v[227:228], s[14:15], -v[160:161]
	v_fma_f64 v[154:155], v[227:228], s[14:15], v[160:161]
	v_add_f64_e32 v[42:43], v[42:43], v[182:183]
	v_add_f64_e32 v[182:183], v[66:67], v[60:61]
	s_delay_alu instid0(VALU_DEP_3) | instskip(SKIP_1) | instid1(VALU_DEP_3)
	v_add_f64_e32 v[154:155], v[154:155], v[201:202]
	v_mul_f64_e32 v[201:202], s[26:27], v[176:177]
	v_fma_f64 v[231:232], v[182:183], s[10:11], v[229:230]
	v_fma_f64 v[160:161], v[182:183], s[10:11], -v[229:230]
	s_delay_alu instid0(VALU_DEP_2) | instskip(SKIP_1) | instid1(VALU_DEP_3)
	v_add_f64_e32 v[40:41], v[231:232], v[40:41]
	v_add_f64_e32 v[231:232], v[70:71], v[64:65]
	;; [unrolled: 1-line block ×3, first 2 shown]
	s_delay_alu instid0(VALU_DEP_2) | instskip(SKIP_1) | instid1(VALU_DEP_2)
	v_fma_f64 v[235:236], v[231:232], s[10:11], -v[233:234]
	v_fma_f64 v[160:161], v[231:232], s[10:11], v[233:234]
	v_add_f64_e32 v[42:43], v[235:236], v[42:43]
	v_add_f64_e32 v[235:236], v[74:75], v[68:69]
	s_delay_alu instid0(VALU_DEP_3) | instskip(SKIP_1) | instid1(VALU_DEP_3)
	v_add_f64_e32 v[154:155], v[160:161], v[154:155]
	v_mul_f64_e32 v[160:161], s[28:29], v[221:222]
	v_fma_f64 v[237:238], v[235:236], s[8:9], v[116:117]
	v_fma_f64 v[116:117], v[235:236], s[8:9], -v[116:117]
	s_delay_alu instid0(VALU_DEP_2) | instskip(SKIP_1) | instid1(VALU_DEP_3)
	v_add_f64_e32 v[40:41], v[237:238], v[40:41]
	v_add_f64_e32 v[237:238], v[78:79], v[72:73]
	;; [unrolled: 1-line block ×3, first 2 shown]
	s_delay_alu instid0(VALU_DEP_2) | instskip(SKIP_1) | instid1(VALU_DEP_2)
	v_fma_f64 v[239:240], v[237:238], s[8:9], -v[118:119]
	v_fma_f64 v[118:119], v[237:238], s[8:9], v[118:119]
	v_add_f64_e32 v[239:240], v[239:240], v[42:43]
	s_delay_alu instid0(VALU_DEP_2) | instskip(SKIP_3) | instid1(VALU_DEP_3)
	v_add_f64_e32 v[152:153], v[118:119], v[154:155]
	v_fma_f64 v[118:119], v[241:242], s[2:3], -v[243:244]
	v_fma_f64 v[154:155], v[245:246], s[2:3], v[247:248]
	v_fma_f64 v[42:43], v[241:242], s[2:3], v[243:244]
	v_add_f64_e32 v[118:119], v[118:119], v[116:117]
	s_delay_alu instid0(VALU_DEP_3) | instskip(SKIP_4) | instid1(VALU_DEP_4)
	v_add_f64_e32 v[116:117], v[154:155], v[152:153]
	v_fma_f64 v[152:153], v[223:224], s[2:3], v[160:161]
	v_fma_f64 v[160:161], v[223:224], s[2:3], -v[160:161]
	v_add_f64_e32 v[42:43], v[42:43], v[40:41]
	v_fma_f64 v[40:41], v[245:246], s[2:3], -v[247:248]
	v_add_f64_e32 v[152:153], v[152:153], v[184:185]
	v_mul_f64_e32 v[184:185], s[28:29], v[225:226]
	v_add_f64_e32 v[160:161], v[160:161], v[162:163]
	s_delay_alu instid0(VALU_DEP_4) | instskip(NEXT) | instid1(VALU_DEP_3)
	v_add_f64_e32 v[40:41], v[40:41], v[239:240]
	v_fma_f64 v[154:155], v[227:228], s[2:3], -v[184:185]
	v_fma_f64 v[162:163], v[227:228], s[2:3], v[184:185]
	v_fma_f64 v[184:185], v[182:183], s[14:15], -v[201:202]
	s_delay_alu instid0(VALU_DEP_3) | instskip(SKIP_1) | instid1(VALU_DEP_4)
	v_add_f64_e32 v[154:155], v[154:155], v[211:212]
	v_fma_f64 v[211:212], v[182:183], s[14:15], v[201:202]
	v_add_f64_e32 v[162:163], v[162:163], v[203:204]
	s_delay_alu instid0(VALU_DEP_4) | instskip(SKIP_4) | instid1(VALU_DEP_1)
	v_add_f64_e32 v[160:161], v[184:185], v[160:161]
	v_fma_f64 v[201:202], v[182:183], s[8:9], v[164:165]
	v_fma_f64 v[164:165], v[182:183], s[8:9], -v[164:165]
	v_add_f64_e32 v[152:153], v[211:212], v[152:153]
	v_mul_f64_e32 v[211:212], s[26:27], v[178:179]
	v_fma_f64 v[229:230], v[231:232], s[14:15], -v[211:212]
	v_fma_f64 v[184:185], v[231:232], s[14:15], v[211:212]
	s_delay_alu instid0(VALU_DEP_2) | instskip(SKIP_1) | instid1(VALU_DEP_3)
	v_add_f64_e32 v[154:155], v[229:230], v[154:155]
	v_mul_f64_e32 v[229:230], s[22:23], v[50:51]
	v_add_f64_e32 v[162:163], v[184:185], v[162:163]
	s_delay_alu instid0(VALU_DEP_2) | instskip(SKIP_2) | instid1(VALU_DEP_3)
	v_fma_f64 v[233:234], v[235:236], s[12:13], v[229:230]
	v_fma_f64 v[184:185], v[235:236], s[12:13], -v[229:230]
	v_mul_f64_e32 v[229:230], s[18:19], v[174:175]
	v_add_f64_e32 v[152:153], v[233:234], v[152:153]
	v_mul_f64_e32 v[233:234], s[22:23], v[58:59]
	s_delay_alu instid0(VALU_DEP_4) | instskip(NEXT) | instid1(VALU_DEP_2)
	v_add_f64_e32 v[160:161], v[184:185], v[160:161]
	v_fma_f64 v[239:240], v[237:238], s[12:13], -v[233:234]
	v_fma_f64 v[184:185], v[237:238], s[12:13], v[233:234]
	v_mul_f64_e32 v[233:234], s[16:17], v[174:175]
	s_delay_alu instid0(VALU_DEP_3) | instskip(SKIP_1) | instid1(VALU_DEP_4)
	v_add_f64_e32 v[239:240], v[239:240], v[154:155]
	v_fma_f64 v[154:155], v[241:242], s[8:9], v[156:157]
	v_add_f64_e32 v[162:163], v[184:185], v[162:163]
	v_fma_f64 v[156:157], v[241:242], s[8:9], -v[156:157]
	v_fma_f64 v[184:185], v[245:246], s[8:9], v[158:159]
	s_delay_alu instid0(VALU_DEP_4) | instskip(SKIP_1) | instid1(VALU_DEP_4)
	v_add_f64_e32 v[154:155], v[154:155], v[152:153]
	v_fma_f64 v[152:153], v[245:246], s[8:9], -v[158:159]
	v_add_f64_e32 v[158:159], v[156:157], v[160:161]
	s_delay_alu instid0(VALU_DEP_4) | instskip(SKIP_1) | instid1(VALU_DEP_4)
	v_add_f64_e32 v[156:157], v[184:185], v[162:163]
	v_mul_f64_e32 v[184:185], s[34:35], v[221:222]
	v_add_f64_e32 v[152:153], v[152:153], v[239:240]
	s_delay_alu instid0(VALU_DEP_2) | instskip(SKIP_1) | instid1(VALU_DEP_2)
	v_fma_f64 v[160:161], v[223:224], s[12:13], v[184:185]
	v_fma_f64 v[184:185], v[223:224], s[12:13], -v[184:185]
	v_add_f64_e32 v[160:161], v[160:161], v[186:187]
	v_mul_f64_e32 v[186:187], s[34:35], v[225:226]
	s_delay_alu instid0(VALU_DEP_3) | instskip(NEXT) | instid1(VALU_DEP_3)
	v_add_f64_e32 v[168:169], v[184:185], v[168:169]
	v_add_f64_e32 v[160:161], v[201:202], v[160:161]
	s_delay_alu instid0(VALU_DEP_3)
	v_fma_f64 v[162:163], v[227:228], s[12:13], -v[186:187]
	v_fma_f64 v[201:202], v[231:232], s[8:9], -v[166:167]
	v_fma_f64 v[184:185], v[227:228], s[12:13], v[186:187]
	v_add_f64_e32 v[164:165], v[164:165], v[168:169]
	v_fma_f64 v[166:167], v[231:232], s[8:9], v[166:167]
	v_mul_f64_e32 v[186:187], s[24:25], v[225:226]
	v_add_f64_e32 v[162:163], v[162:163], v[213:214]
	v_mul_f64_e32 v[213:214], s[18:19], v[172:173]
	v_add_f64_e32 v[184:185], v[184:185], v[205:206]
	s_delay_alu instid0(VALU_DEP_3) | instskip(SKIP_1) | instid1(VALU_DEP_3)
	v_add_f64_e32 v[162:163], v[201:202], v[162:163]
	v_mul_f64_e32 v[201:202], s[26:27], v[50:51]
	v_add_f64_e32 v[166:167], v[166:167], v[184:185]
	v_fma_f64 v[184:185], v[245:246], s[10:11], v[229:230]
	s_delay_alu instid0(VALU_DEP_3) | instskip(SKIP_3) | instid1(VALU_DEP_4)
	v_fma_f64 v[203:204], v[235:236], s[14:15], v[201:202]
	v_fma_f64 v[168:169], v[235:236], s[14:15], -v[201:202]
	v_mul_f64_e32 v[201:202], s[20:21], v[176:177]
	v_mul_f64_e32 v[176:177], s[34:35], v[176:177]
	v_add_f64_e32 v[160:161], v[203:204], v[160:161]
	v_mul_f64_e32 v[203:204], s[26:27], v[58:59]
	v_add_f64_e32 v[164:165], v[168:169], v[164:165]
	s_delay_alu instid0(VALU_DEP_2) | instskip(SKIP_2) | instid1(VALU_DEP_3)
	v_fma_f64 v[168:169], v[237:238], s[14:15], v[203:204]
	v_fma_f64 v[211:212], v[237:238], s[14:15], -v[203:204]
	v_fma_f64 v[203:204], v[182:183], s[2:3], -v[201:202]
	v_add_f64_e32 v[168:169], v[168:169], v[166:167]
	v_fma_f64 v[166:167], v[241:242], s[10:11], -v[213:214]
	s_delay_alu instid0(VALU_DEP_4) | instskip(SKIP_1) | instid1(VALU_DEP_3)
	v_add_f64_e32 v[211:212], v[211:212], v[162:163]
	v_fma_f64 v[162:163], v[241:242], s[10:11], v[213:214]
	v_add_f64_e32 v[166:167], v[166:167], v[164:165]
	v_add_f64_e32 v[164:165], v[184:185], v[168:169]
	v_mul_f64_e32 v[184:185], s[24:25], v[221:222]
	s_delay_alu instid0(VALU_DEP_4) | instskip(SKIP_2) | instid1(VALU_DEP_4)
	v_add_f64_e32 v[162:163], v[162:163], v[160:161]
	v_fma_f64 v[160:161], v[245:246], s[10:11], -v[229:230]
	v_mul_f64_e32 v[229:230], s[22:23], v[174:175]
	v_fma_f64 v[168:169], v[223:224], s[8:9], -v[184:185]
	s_delay_alu instid0(VALU_DEP_3) | instskip(NEXT) | instid1(VALU_DEP_2)
	v_add_f64_e32 v[160:161], v[160:161], v[211:212]
	v_add_f64_e32 v[168:169], v[168:169], v[170:171]
	v_fma_f64 v[170:171], v[227:228], s[8:9], v[186:187]
	s_delay_alu instid0(VALU_DEP_2) | instskip(SKIP_1) | instid1(VALU_DEP_3)
	v_add_f64_e32 v[168:169], v[203:204], v[168:169]
	v_mul_f64_e32 v[203:204], s[20:21], v[178:179]
	v_add_f64_e32 v[170:171], v[170:171], v[215:216]
	v_mul_f64_e32 v[215:216], s[22:23], v[172:173]
	v_mul_f64_e32 v[178:179], s[34:35], v[178:179]
	s_delay_alu instid0(VALU_DEP_4) | instskip(NEXT) | instid1(VALU_DEP_1)
	v_fma_f64 v[205:206], v[231:232], s[2:3], v[203:204]
	v_add_f64_e32 v[170:171], v[205:206], v[170:171]
	v_mul_f64_e32 v[205:206], s[18:19], v[50:51]
	v_mul_f64_e32 v[50:51], s[28:29], v[50:51]
	s_delay_alu instid0(VALU_DEP_2) | instskip(NEXT) | instid1(VALU_DEP_1)
	v_fma_f64 v[211:212], v[235:236], s[10:11], -v[205:206]
	v_add_f64_e32 v[168:169], v[211:212], v[168:169]
	v_mul_f64_e32 v[211:212], s[18:19], v[58:59]
	v_mul_f64_e32 v[58:59], s[28:29], v[58:59]
	s_delay_alu instid0(VALU_DEP_2) | instskip(NEXT) | instid1(VALU_DEP_1)
	v_fma_f64 v[213:214], v[237:238], s[10:11], v[211:212]
	v_add_f64_e32 v[213:214], v[213:214], v[170:171]
	v_fma_f64 v[170:171], v[241:242], s[12:13], -v[215:216]
	s_delay_alu instid0(VALU_DEP_1) | instskip(SKIP_1) | instid1(VALU_DEP_1)
	v_add_f64_e32 v[170:171], v[170:171], v[168:169]
	v_fma_f64 v[168:169], v[245:246], s[12:13], v[229:230]
	v_add_f64_e32 v[168:169], v[168:169], v[213:214]
	v_mul_f64_e32 v[213:214], s[18:19], v[221:222]
	s_delay_alu instid0(VALU_DEP_1) | instskip(NEXT) | instid1(VALU_DEP_1)
	v_fma_f64 v[221:222], v[223:224], s[10:11], -v[213:214]
	v_add_f64_e32 v[199:200], v[221:222], v[199:200]
	v_mul_f64_e32 v[221:222], s[18:19], v[225:226]
	s_delay_alu instid0(VALU_DEP_1) | instskip(NEXT) | instid1(VALU_DEP_1)
	v_fma_f64 v[225:226], v[227:228], s[10:11], v[221:222]
	v_add_f64_e32 v[217:218], v[225:226], v[217:218]
	v_fma_f64 v[225:226], v[182:183], s[12:13], -v[176:177]
	v_fma_f64 v[176:177], v[182:183], s[12:13], v[176:177]
	s_delay_alu instid0(VALU_DEP_2) | instskip(SKIP_2) | instid1(VALU_DEP_2)
	v_add_f64_e32 v[199:200], v[225:226], v[199:200]
	v_fma_f64 v[225:226], v[231:232], s[12:13], v[178:179]
	v_fma_f64 v[178:179], v[231:232], s[12:13], -v[178:179]
	v_add_f64_e32 v[217:218], v[225:226], v[217:218]
	v_fma_f64 v[225:226], v[235:236], s[2:3], -v[50:51]
	v_fma_f64 v[50:51], v[235:236], s[2:3], v[50:51]
	s_delay_alu instid0(VALU_DEP_2) | instskip(SKIP_2) | instid1(VALU_DEP_2)
	v_add_f64_e32 v[199:200], v[225:226], v[199:200]
	v_fma_f64 v[225:226], v[237:238], s[2:3], v[58:59]
	v_fma_f64 v[58:59], v[237:238], s[2:3], -v[58:59]
	v_add_f64_e32 v[217:218], v[225:226], v[217:218]
	v_mul_f64_e32 v[225:226], s[16:17], v[172:173]
	s_delay_alu instid0(VALU_DEP_1) | instskip(NEXT) | instid1(VALU_DEP_1)
	v_fma_f64 v[172:173], v[241:242], s[14:15], -v[225:226]
	v_add_f64_e32 v[174:175], v[172:173], v[199:200]
	v_fma_f64 v[199:200], v[223:224], s[10:11], v[213:214]
	v_fma_f64 v[213:214], v[227:228], s[10:11], -v[221:222]
	v_fma_f64 v[172:173], v[245:246], s[14:15], v[233:234]
	s_delay_alu instid0(VALU_DEP_3) | instskip(NEXT) | instid1(VALU_DEP_3)
	v_add_f64_e32 v[199:200], v[199:200], v[219:220]
	v_add_f64_e32 v[180:181], v[213:214], v[180:181]
	s_delay_alu instid0(VALU_DEP_3) | instskip(NEXT) | instid1(VALU_DEP_3)
	v_add_f64_e32 v[172:173], v[172:173], v[217:218]
	v_add_f64_e32 v[176:177], v[176:177], v[199:200]
	s_delay_alu instid0(VALU_DEP_3) | instskip(SKIP_1) | instid1(VALU_DEP_3)
	v_add_f64_e32 v[178:179], v[178:179], v[180:181]
	v_fma_f64 v[180:181], v[245:246], s[14:15], -v[233:234]
	v_add_f64_e32 v[50:51], v[50:51], v[176:177]
	v_fma_f64 v[176:177], v[241:242], s[14:15], v[225:226]
	s_delay_alu instid0(VALU_DEP_4) | instskip(NEXT) | instid1(VALU_DEP_2)
	v_add_f64_e32 v[58:59], v[58:59], v[178:179]
	v_add_f64_e32 v[178:179], v[176:177], v[50:51]
	;; [unrolled: 1-line block ×3, first 2 shown]
	s_delay_alu instid0(VALU_DEP_3) | instskip(SKIP_1) | instid1(VALU_DEP_3)
	v_add_f64_e32 v[176:177], v[180:181], v[58:59]
	v_add_f64_e32 v[58:59], v[209:210], v[62:63]
	;; [unrolled: 1-line block ×3, first 2 shown]
	s_delay_alu instid0(VALU_DEP_2) | instskip(NEXT) | instid1(VALU_DEP_2)
	v_add_f64_e32 v[58:59], v[58:59], v[70:71]
	v_add_f64_e32 v[50:51], v[50:51], v[74:75]
	s_delay_alu instid0(VALU_DEP_2) | instskip(NEXT) | instid1(VALU_DEP_2)
	v_add_f64_e32 v[58:59], v[58:59], v[78:79]
	v_add_f64_e32 v[50:51], v[50:51], v[80:81]
	s_delay_alu instid0(VALU_DEP_2) | instskip(SKIP_1) | instid1(VALU_DEP_3)
	v_add_f64_e32 v[44:45], v[58:59], v[44:45]
	v_fma_f64 v[58:59], v[237:238], s[10:11], -v[211:212]
	v_add_f64_e32 v[50:51], v[50:51], v[76:77]
	s_delay_alu instid0(VALU_DEP_3) | instskip(NEXT) | instid1(VALU_DEP_2)
	v_add_f64_e32 v[44:45], v[44:45], v[46:47]
	v_add_f64_e32 v[46:47], v[50:51], v[68:69]
	v_fma_f64 v[50:51], v[227:228], s[8:9], -v[186:187]
	s_delay_alu instid0(VALU_DEP_3) | instskip(NEXT) | instid1(VALU_DEP_3)
	v_add_f64_e32 v[44:45], v[44:45], v[72:73]
	v_add_f64_e32 v[46:47], v[46:47], v[60:61]
	s_delay_alu instid0(VALU_DEP_3) | instskip(NEXT) | instid1(VALU_DEP_3)
	v_add_f64_e32 v[50:51], v[50:51], v[207:208]
	v_add_f64_e32 v[44:45], v[44:45], v[64:65]
	s_delay_alu instid0(VALU_DEP_3) | instskip(SKIP_1) | instid1(VALU_DEP_3)
	v_add_f64_e32 v[46:47], v[46:47], v[56:57]
	v_fma_f64 v[56:57], v[235:236], s[10:11], v[205:206]
	v_add_f64_e32 v[44:45], v[44:45], v[52:53]
	v_fma_f64 v[52:53], v[182:183], s[2:3], v[201:202]
	s_delay_alu instid0(VALU_DEP_4) | instskip(SKIP_1) | instid1(VALU_DEP_4)
	v_add_f64_e32 v[46:47], v[46:47], v[48:49]
	v_fma_f64 v[48:49], v[223:224], s[8:9], v[184:185]
	v_add_f64_e32 v[44:45], v[44:45], v[54:55]
	v_fma_f64 v[54:55], v[231:232], s[2:3], -v[203:204]
	s_delay_alu instid0(VALU_DEP_3) | instskip(NEXT) | instid1(VALU_DEP_2)
	v_add_f64_e32 v[48:49], v[48:49], v[193:194]
	v_add_f64_e32 v[50:51], v[54:55], v[50:51]
	v_fma_f64 v[54:55], v[245:246], s[12:13], -v[229:230]
	s_delay_alu instid0(VALU_DEP_3) | instskip(SKIP_1) | instid1(VALU_DEP_2)
	v_add_f64_e32 v[48:49], v[52:53], v[48:49]
	v_fma_f64 v[52:53], v[241:242], s[12:13], v[215:216]
	v_add_f64_e32 v[48:49], v[56:57], v[48:49]
	v_add_f64_e32 v[56:57], v[58:59], v[50:51]
	s_delay_alu instid0(VALU_DEP_2) | instskip(NEXT) | instid1(VALU_DEP_2)
	v_add_f64_e32 v[50:51], v[52:53], v[48:49]
	v_add_f64_e32 v[48:49], v[54:55], v[56:57]
	v_mul_u32_u24_e32 v52, 44, v198
	s_delay_alu instid0(VALU_DEP_1) | instskip(NEXT) | instid1(VALU_DEP_1)
	v_or_b32_e32 v52, v52, v197
	v_lshlrev_b32_e32 v52, 4, v52
	ds_store_b128 v52, v[156:159] offset:256
	ds_store_b128 v52, v[116:119] offset:320
	;; [unrolled: 1-line block ×9, first 2 shown]
	ds_store_b128 v52, v[44:47]
	ds_store_b128 v52, v[48:51] offset:640
.LBB0_9:
	s_wait_alu 0xfffe
	s_or_b32 exec_lo, exec_lo, s30
	global_wb scope:SCOPE_SE
	s_wait_dscnt 0x0
	s_barrier_signal -1
	s_barrier_wait -1
	global_inv scope:SCOPE_SE
	ds_load_b128 v[40:43], v196 offset:3520
	ds_load_b128 v[44:47], v196 offset:7040
	;; [unrolled: 1-line block ×8, first 2 shown]
	s_mov_b32 s2, 0x134454ff
	s_mov_b32 s3, 0xbfee6f0e
	;; [unrolled: 1-line block ×3, first 2 shown]
	s_wait_alu 0xfffe
	s_mov_b32 s8, s2
	s_mov_b32 s10, 0x4755a5e
	;; [unrolled: 1-line block ×4, first 2 shown]
	s_wait_alu 0xfffe
	s_mov_b32 s12, s10
	s_mov_b32 s14, 0x372fe950
	;; [unrolled: 1-line block ×3, first 2 shown]
	s_wait_dscnt 0x7
	v_mul_f64_e32 v[72:73], v[86:87], v[42:43]
	s_wait_dscnt 0x6
	v_mul_f64_e32 v[74:75], v[90:91], v[46:47]
	;; [unrolled: 2-line block ×3, first 2 shown]
	v_mul_f64_e32 v[78:79], v[86:87], v[40:41]
	v_mul_f64_e32 v[82:83], v[90:91], v[44:45]
	v_mul_f64_e32 v[86:87], v[98:99], v[48:49]
	s_wait_dscnt 0x4
	v_mul_f64_e32 v[80:81], v[94:95], v[54:55]
	v_mul_f64_e32 v[90:91], v[94:95], v[52:53]
	s_wait_dscnt 0x2
	v_mul_f64_e32 v[98:99], v[106:107], v[62:63]
	s_wait_dscnt 0x1
	v_mul_f64_e32 v[116:117], v[114:115], v[66:67]
	v_mul_f64_e32 v[106:107], v[106:107], v[60:61]
	;; [unrolled: 1-line block ×4, first 2 shown]
	s_wait_dscnt 0x0
	v_mul_f64_e32 v[118:119], v[110:111], v[70:71]
	v_mul_f64_e32 v[102:103], v[102:103], v[56:57]
	;; [unrolled: 1-line block ×3, first 2 shown]
	v_fma_f64 v[72:73], v[84:85], v[40:41], v[72:73]
	v_fma_f64 v[74:75], v[88:89], v[44:45], v[74:75]
	;; [unrolled: 1-line block ×3, first 2 shown]
	v_fma_f64 v[76:77], v[84:85], v[42:43], -v[78:79]
	v_fma_f64 v[78:79], v[88:89], v[46:47], -v[82:83]
	;; [unrolled: 1-line block ×3, first 2 shown]
	v_fma_f64 v[52:53], v[92:93], v[52:53], v[80:81]
	v_fma_f64 v[54:55], v[92:93], v[54:55], -v[90:91]
	v_fma_f64 v[60:61], v[104:105], v[60:61], v[98:99]
	v_fma_f64 v[64:65], v[112:113], v[64:65], v[116:117]
	v_fma_f64 v[62:63], v[104:105], v[62:63], -v[106:107]
	v_fma_f64 v[66:67], v[112:113], v[66:67], -v[114:115]
	v_fma_f64 v[56:57], v[100:101], v[56:57], v[94:95]
	v_fma_f64 v[68:69], v[108:109], v[68:69], v[118:119]
	v_fma_f64 v[58:59], v[100:101], v[58:59], -v[102:103]
	v_fma_f64 v[70:71], v[108:109], v[70:71], -v[110:111]
	ds_load_b128 v[40:43], v196
	ds_load_b128 v[44:47], v196 offset:1760
	global_wb scope:SCOPE_SE
	s_wait_dscnt 0x0
	s_barrier_signal -1
	s_barrier_wait -1
	global_inv scope:SCOPE_SE
	v_add_f64_e32 v[96:97], v[40:41], v[72:73]
	v_add_f64_e32 v[80:81], v[74:75], v[48:49]
	;; [unrolled: 1-line block ×3, first 2 shown]
	v_add_f64_e64 v[118:119], v[76:77], -v[78:79]
	v_add_f64_e32 v[84:85], v[78:79], v[50:51]
	v_add_f64_e32 v[82:83], v[72:73], v[52:53]
	;; [unrolled: 1-line block ×3, first 2 shown]
	v_add_f64_e64 v[98:99], v[76:77], -v[54:55]
	v_add_f64_e32 v[88:89], v[60:61], v[64:65]
	v_add_f64_e64 v[108:109], v[72:73], -v[52:53]
	v_add_f64_e32 v[92:93], v[62:63], v[66:67]
	v_add_f64_e32 v[104:105], v[44:45], v[56:57]
	;; [unrolled: 1-line block ×3, first 2 shown]
	v_add_f64_e64 v[100:101], v[78:79], -v[50:51]
	v_add_f64_e32 v[94:95], v[58:59], v[70:71]
	v_add_f64_e32 v[106:107], v[46:47], v[58:59]
	v_add_f64_e64 v[110:111], v[58:59], -v[70:71]
	v_add_f64_e64 v[112:113], v[56:57], -v[68:69]
	v_add_f64_e64 v[76:77], v[78:79], -v[76:77]
	v_add_f64_e64 v[114:115], v[52:53], -v[48:49]
	v_add_f64_e64 v[152:153], v[54:55], -v[50:51]
	v_add_f64_e64 v[156:157], v[56:57], -v[60:61]
	v_add_f64_e64 v[56:57], v[60:61], -v[56:57]
	v_add_f64_e64 v[160:161], v[64:65], -v[68:69]
	v_add_f64_e64 v[116:117], v[48:49], -v[52:53]
	v_add_f64_e64 v[154:155], v[50:51], -v[54:55]
	v_add_f64_e64 v[162:163], v[58:59], -v[62:63]
	v_add_f64_e64 v[58:59], v[62:63], -v[58:59]
	v_add_f64_e64 v[166:167], v[66:67], -v[70:71]
	v_add_f64_e64 v[158:159], v[68:69], -v[64:65]
	v_add_f64_e64 v[164:165], v[70:71], -v[66:67]
	v_fma_f64 v[80:81], v[80:81], -0.5, v[40:41]
	v_add_f64_e32 v[78:79], v[102:103], v[78:79]
	v_fma_f64 v[84:85], v[84:85], -0.5, v[42:43]
	v_fma_f64 v[40:41], v[82:83], -0.5, v[40:41]
	v_add_f64_e64 v[82:83], v[74:75], -v[48:49]
	v_fma_f64 v[42:43], v[86:87], -0.5, v[42:43]
	v_fma_f64 v[88:89], v[88:89], -0.5, v[44:45]
	v_add_f64_e64 v[86:87], v[62:63], -v[66:67]
	;; [unrolled: 3-line block ×3, first 2 shown]
	v_fma_f64 v[46:47], v[94:95], -0.5, v[46:47]
	v_add_f64_e64 v[94:95], v[72:73], -v[74:75]
	v_add_f64_e64 v[72:73], v[74:75], -v[72:73]
	v_add_f64_e32 v[74:75], v[96:97], v[74:75]
	v_add_f64_e32 v[60:61], v[104:105], v[60:61]
	;; [unrolled: 1-line block ×5, first 2 shown]
	v_fma_f64 v[96:97], v[98:99], s[2:3], v[80:81]
	v_fma_f64 v[80:81], v[98:99], s[8:9], v[80:81]
	v_add_f64_e32 v[50:51], v[78:79], v[50:51]
	v_fma_f64 v[104:105], v[108:109], s[8:9], v[84:85]
	v_fma_f64 v[102:103], v[100:101], s[8:9], v[40:41]
	;; [unrolled: 1-line block ×14, first 2 shown]
	v_add_f64_e32 v[48:49], v[74:75], v[48:49]
	v_add_f64_e32 v[94:95], v[94:95], v[114:115]
	;; [unrolled: 1-line block ×9, first 2 shown]
	v_fma_f64 v[60:61], v[100:101], s[10:11], v[96:97]
	s_wait_alu 0xfffe
	v_fma_f64 v[62:63], v[100:101], s[12:13], v[80:81]
	v_fma_f64 v[74:75], v[82:83], s[12:13], v[104:105]
	;; [unrolled: 1-line block ×15, first 2 shown]
	v_add_f64_e32 v[40:41], v[48:49], v[52:53]
	v_add_f64_e32 v[42:43], v[50:51], v[54:55]
	;; [unrolled: 1-line block ×4, first 2 shown]
	v_fma_f64 v[48:49], v[94:95], s[14:15], v[60:61]
	v_fma_f64 v[52:53], v[94:95], s[14:15], v[62:63]
	;; [unrolled: 1-line block ×16, first 2 shown]
	ds_store_b128 v192, v[40:43]
	ds_store_b128 v192, v[48:51] offset:704
	ds_store_b128 v192, v[56:59] offset:1408
	ds_store_b128 v192, v[60:63] offset:2112
	ds_store_b128 v192, v[52:55] offset:2816
	ds_store_b128 v191, v[44:47]
	ds_store_b128 v191, v[64:67] offset:704
	ds_store_b128 v191, v[72:75] offset:1408
	;; [unrolled: 1-line block ×4, first 2 shown]
	global_wb scope:SCOPE_SE
	s_wait_dscnt 0x0
	s_barrier_signal -1
	s_barrier_wait -1
	global_inv scope:SCOPE_SE
	ds_load_b128 v[40:43], v196 offset:3520
	ds_load_b128 v[44:47], v196 offset:7040
	;; [unrolled: 1-line block ×8, first 2 shown]
	s_wait_dscnt 0x7
	v_mul_f64_e32 v[72:73], v[122:123], v[42:43]
	s_wait_dscnt 0x6
	v_mul_f64_e32 v[76:77], v[126:127], v[46:47]
	v_mul_f64_e32 v[78:79], v[126:127], v[44:45]
	s_wait_dscnt 0x5
	v_mul_f64_e32 v[80:81], v[134:135], v[50:51]
	;; [unrolled: 3-line block ×3, first 2 shown]
	s_wait_dscnt 0x2
	v_mul_f64_e32 v[90:91], v[142:143], v[62:63]
	v_mul_f64_e32 v[92:93], v[142:143], v[60:61]
	s_wait_dscnt 0x1
	v_mul_f64_e32 v[94:95], v[150:151], v[66:67]
	v_mul_f64_e32 v[98:99], v[150:151], v[64:65]
	;; [unrolled: 1-line block ×5, first 2 shown]
	s_wait_dscnt 0x0
	v_mul_f64_e32 v[96:97], v[146:147], v[70:71]
	v_mul_f64_e32 v[100:101], v[138:139], v[56:57]
	v_mul_f64_e32 v[102:103], v[146:147], v[68:69]
	v_fma_f64 v[72:73], v[120:121], v[40:41], v[72:73]
	v_fma_f64 v[76:77], v[124:125], v[44:45], v[76:77]
	v_fma_f64 v[78:79], v[124:125], v[46:47], -v[78:79]
	v_fma_f64 v[48:49], v[132:133], v[48:49], v[80:81]
	v_fma_f64 v[50:51], v[132:133], v[50:51], -v[82:83]
	v_fma_f64 v[52:53], v[128:129], v[52:53], v[84:85]
	v_fma_f64 v[60:61], v[140:141], v[60:61], v[90:91]
	v_fma_f64 v[62:63], v[140:141], v[62:63], -v[92:93]
	v_fma_f64 v[64:65], v[148:149], v[64:65], v[94:95]
	v_fma_f64 v[66:67], v[148:149], v[66:67], -v[98:99]
	v_fma_f64 v[74:75], v[120:121], v[42:43], -v[74:75]
	;; [unrolled: 1-line block ×3, first 2 shown]
	v_fma_f64 v[56:57], v[136:137], v[56:57], v[88:89]
	v_fma_f64 v[68:69], v[144:145], v[68:69], v[96:97]
	v_fma_f64 v[58:59], v[136:137], v[58:59], -v[100:101]
	v_fma_f64 v[70:71], v[144:145], v[70:71], -v[102:103]
	ds_load_b128 v[40:43], v196
	ds_load_b128 v[44:47], v196 offset:1760
	s_wait_dscnt 0x1
	v_add_f64_e32 v[96:97], v[40:41], v[72:73]
	v_add_f64_e32 v[80:81], v[76:77], v[48:49]
	;; [unrolled: 1-line block ×4, first 2 shown]
	v_add_f64_e64 v[104:105], v[72:73], -v[52:53]
	v_add_f64_e64 v[100:101], v[78:79], -v[50:51]
	v_add_f64_e32 v[88:89], v[60:61], v[64:65]
	v_add_f64_e32 v[92:93], v[62:63], v[66:67]
	v_add_f64_e32 v[102:103], v[42:43], v[74:75]
	v_add_f64_e32 v[86:87], v[74:75], v[54:55]
	s_wait_dscnt 0x0
	v_add_f64_e32 v[108:109], v[44:45], v[56:57]
	v_add_f64_e32 v[90:91], v[56:57], v[68:69]
	;; [unrolled: 1-line block ×4, first 2 shown]
	v_add_f64_e64 v[98:99], v[74:75], -v[54:55]
	v_add_f64_e64 v[112:113], v[58:59], -v[70:71]
	v_add_f64_e64 v[114:115], v[56:57], -v[68:69]
	v_add_f64_e64 v[106:107], v[76:77], -v[48:49]
	v_add_f64_e64 v[118:119], v[74:75], -v[78:79]
	v_add_f64_e64 v[74:75], v[78:79], -v[74:75]
	v_add_f64_e64 v[120:121], v[54:55], -v[50:51]
	v_add_f64_e64 v[122:123], v[50:51], -v[54:55]
	v_add_f64_e64 v[124:125], v[56:57], -v[60:61]
	v_add_f64_e64 v[56:57], v[60:61], -v[56:57]
	v_add_f64_e64 v[128:129], v[64:65], -v[68:69]
	v_add_f64_e64 v[130:131], v[58:59], -v[62:63]
	v_add_f64_e64 v[58:59], v[62:63], -v[58:59]
	v_add_f64_e64 v[134:135], v[66:67], -v[70:71]
	v_add_f64_e64 v[116:117], v[48:49], -v[52:53]
	v_add_f64_e64 v[126:127], v[68:69], -v[64:65]
	v_add_f64_e64 v[132:133], v[70:71], -v[66:67]
	v_fma_f64 v[80:81], v[80:81], -0.5, v[40:41]
	v_fma_f64 v[84:85], v[84:85], -0.5, v[42:43]
	;; [unrolled: 1-line block ×3, first 2 shown]
	v_add_f64_e64 v[82:83], v[62:63], -v[66:67]
	v_fma_f64 v[88:89], v[88:89], -0.5, v[44:45]
	v_fma_f64 v[92:93], v[92:93], -0.5, v[46:47]
	v_add_f64_e32 v[78:79], v[102:103], v[78:79]
	v_fma_f64 v[42:43], v[86:87], -0.5, v[42:43]
	v_add_f64_e64 v[86:87], v[60:61], -v[64:65]
	v_fma_f64 v[44:45], v[90:91], -0.5, v[44:45]
	v_add_f64_e64 v[90:91], v[72:73], -v[76:77]
	;; [unrolled: 2-line block ×3, first 2 shown]
	v_add_f64_e32 v[76:77], v[96:97], v[76:77]
	v_add_f64_e64 v[94:95], v[52:53], -v[48:49]
	v_add_f64_e32 v[60:61], v[108:109], v[60:61]
	v_add_f64_e32 v[62:63], v[110:111], v[62:63]
	;; [unrolled: 1-line block ×4, first 2 shown]
	v_fma_f64 v[96:97], v[98:99], s[2:3], v[80:81]
	v_fma_f64 v[108:109], v[104:105], s[8:9], v[84:85]
	;; [unrolled: 1-line block ×16, first 2 shown]
	v_add_f64_e32 v[48:49], v[76:77], v[48:49]
	v_add_f64_e32 v[50:51], v[78:79], v[50:51]
	;; [unrolled: 1-line block ×10, first 2 shown]
	s_mul_u64 s[2:3], s[4:5], 0x2260
	v_fma_f64 v[60:61], v[100:101], s[10:11], v[96:97]
	v_fma_f64 v[76:77], v[106:107], s[12:13], v[108:109]
	;; [unrolled: 1-line block ×16, first 2 shown]
	v_add_f64_e32 v[40:41], v[48:49], v[52:53]
	v_add_f64_e32 v[42:43], v[50:51], v[54:55]
	v_add_f64_e32 v[44:45], v[56:57], v[68:69]
	v_add_f64_e32 v[46:47], v[58:59], v[70:71]
	v_fma_f64 v[48:49], v[90:91], s[14:15], v[60:61]
	v_fma_f64 v[50:51], v[94:95], s[14:15], v[76:77]
	;; [unrolled: 1-line block ×16, first 2 shown]
	v_mad_co_u64_u32 v[80:81], null, s6, v188, 0
	v_mad_co_u64_u32 v[82:83], null, s4, v195, 0
	ds_store_b128 v196, v[40:43]
	ds_store_b128 v196, v[44:47] offset:1760
	ds_store_b128 v196, v[48:51] offset:3520
	;; [unrolled: 1-line block ×9, first 2 shown]
	global_wb scope:SCOPE_SE
	s_wait_dscnt 0x0
	s_barrier_signal -1
	s_barrier_wait -1
	global_inv scope:SCOPE_SE
	ds_load_b128 v[40:43], v196
	ds_load_b128 v[44:47], v196 offset:8800
	ds_load_b128 v[48:51], v196 offset:1760
	;; [unrolled: 1-line block ×9, first 2 shown]
	v_mad_co_u64_u32 v[84:85], null, s7, v188, v[81:82]
	s_delay_alu instid0(VALU_DEP_1)
	v_mad_co_u64_u32 v[105:106], null, s5, v195, v[83:84]
	v_mov_b32_e32 v81, v84
	s_wait_dscnt 0x5
	v_mul_f64_e32 v[93:94], v[22:23], v[58:59]
	v_mul_f64_e32 v[22:23], v[22:23], v[56:57]
	;; [unrolled: 1-line block ×10, first 2 shown]
	s_wait_dscnt 0x4
	v_mul_f64_e32 v[95:96], v[18:19], v[62:63]
	v_mul_f64_e32 v[18:19], v[18:19], v[60:61]
	s_wait_dscnt 0x3
	v_mul_f64_e32 v[97:98], v[26:27], v[66:67]
	v_mul_f64_e32 v[26:27], v[26:27], v[64:65]
	;; [unrolled: 3-line block ×5, first 2 shown]
	v_mov_b32_e32 v83, v105
	v_lshlrev_b64_e32 v[80:81], 4, v[80:81]
	s_delay_alu instid0(VALU_DEP_2) | instskip(NEXT) | instid1(VALU_DEP_2)
	v_lshlrev_b64_e32 v[82:83], 4, v[82:83]
	v_add_co_u32 v80, vcc_lo, s0, v80
	s_wait_alu 0xfffd
	s_delay_alu instid0(VALU_DEP_3)
	v_add_co_ci_u32_e32 v81, vcc_lo, s1, v81, vcc_lo
	s_movk_i32 s0, 0xe480
	s_mov_b32 s1, -1
	s_wait_alu 0xfffe
	s_mul_u64 s[0:1], s[4:5], s[0:1]
	s_mov_b32 s4, 0xdca01dca
	s_mov_b32 s5, 0x3f4dca01
	v_fma_f64 v[40:41], v[4:5], v[40:41], v[85:86]
	v_fma_f64 v[4:5], v[4:5], v[42:43], -v[6:7]
	v_fma_f64 v[6:7], v[0:1], v[44:45], v[87:88]
	v_fma_f64 v[42:43], v[0:1], v[46:47], -v[2:3]
	;; [unrolled: 2-line block ×10, first 2 shown]
	v_add_co_u32 v60, vcc_lo, v80, v82
	s_wait_alu 0xfffd
	v_add_co_ci_u32_e32 v61, vcc_lo, v81, v83, vcc_lo
	s_delay_alu instid0(VALU_DEP_2) | instskip(SKIP_1) | instid1(VALU_DEP_2)
	v_add_co_u32 v62, vcc_lo, v60, s2
	s_wait_alu 0xfffd
	v_add_co_ci_u32_e32 v63, vcc_lo, s3, v61, vcc_lo
	s_wait_alu 0xfffe
	s_delay_alu instid0(VALU_DEP_2) | instskip(SKIP_1) | instid1(VALU_DEP_2)
	v_add_co_u32 v64, vcc_lo, v62, s0
	s_wait_alu 0xfffd
	v_add_co_ci_u32_e32 v65, vcc_lo, s1, v63, vcc_lo
	s_delay_alu instid0(VALU_DEP_2) | instskip(SKIP_1) | instid1(VALU_DEP_2)
	v_add_co_u32 v66, vcc_lo, v64, s2
	s_wait_alu 0xfffd
	v_add_co_ci_u32_e32 v67, vcc_lo, s3, v65, vcc_lo
	v_mul_f64_e32 v[0:1], s[4:5], v[40:41]
	v_mul_f64_e32 v[2:3], s[4:5], v[4:5]
	;; [unrolled: 1-line block ×20, first 2 shown]
	v_add_co_u32 v40, vcc_lo, v66, s0
	s_wait_alu 0xfffd
	v_add_co_ci_u32_e32 v41, vcc_lo, s1, v67, vcc_lo
	s_delay_alu instid0(VALU_DEP_2) | instskip(SKIP_1) | instid1(VALU_DEP_2)
	v_add_co_u32 v42, vcc_lo, v40, s2
	s_wait_alu 0xfffd
	v_add_co_ci_u32_e32 v43, vcc_lo, s3, v41, vcc_lo
	s_delay_alu instid0(VALU_DEP_2) | instskip(SKIP_1) | instid1(VALU_DEP_2)
	;; [unrolled: 4-line block ×5, first 2 shown]
	v_add_co_u32 v50, vcc_lo, v48, s2
	s_wait_alu 0xfffd
	v_add_co_ci_u32_e32 v51, vcc_lo, s3, v49, vcc_lo
	s_clause 0x4
	global_store_b128 v[60:61], v[0:3], off
	global_store_b128 v[62:63], v[4:7], off
	;; [unrolled: 1-line block ×10, first 2 shown]
.LBB0_10:
	s_nop 0
	s_sendmsg sendmsg(MSG_DEALLOC_VGPRS)
	s_endpgm
	.section	.rodata,"a",@progbits
	.p2align	6, 0x0
	.amdhsa_kernel bluestein_single_fwd_len1100_dim1_dp_op_CI_CI
		.amdhsa_group_segment_fixed_size 17600
		.amdhsa_private_segment_fixed_size 0
		.amdhsa_kernarg_size 104
		.amdhsa_user_sgpr_count 2
		.amdhsa_user_sgpr_dispatch_ptr 0
		.amdhsa_user_sgpr_queue_ptr 0
		.amdhsa_user_sgpr_kernarg_segment_ptr 1
		.amdhsa_user_sgpr_dispatch_id 0
		.amdhsa_user_sgpr_private_segment_size 0
		.amdhsa_wavefront_size32 1
		.amdhsa_uses_dynamic_stack 0
		.amdhsa_enable_private_segment 0
		.amdhsa_system_sgpr_workgroup_id_x 1
		.amdhsa_system_sgpr_workgroup_id_y 0
		.amdhsa_system_sgpr_workgroup_id_z 0
		.amdhsa_system_sgpr_workgroup_info 0
		.amdhsa_system_vgpr_workitem_id 0
		.amdhsa_next_free_vgpr 256
		.amdhsa_next_free_sgpr 42
		.amdhsa_reserve_vcc 1
		.amdhsa_float_round_mode_32 0
		.amdhsa_float_round_mode_16_64 0
		.amdhsa_float_denorm_mode_32 3
		.amdhsa_float_denorm_mode_16_64 3
		.amdhsa_fp16_overflow 0
		.amdhsa_workgroup_processor_mode 1
		.amdhsa_memory_ordered 1
		.amdhsa_forward_progress 0
		.amdhsa_round_robin_scheduling 0
		.amdhsa_exception_fp_ieee_invalid_op 0
		.amdhsa_exception_fp_denorm_src 0
		.amdhsa_exception_fp_ieee_div_zero 0
		.amdhsa_exception_fp_ieee_overflow 0
		.amdhsa_exception_fp_ieee_underflow 0
		.amdhsa_exception_fp_ieee_inexact 0
		.amdhsa_exception_int_div_zero 0
	.end_amdhsa_kernel
	.text
.Lfunc_end0:
	.size	bluestein_single_fwd_len1100_dim1_dp_op_CI_CI, .Lfunc_end0-bluestein_single_fwd_len1100_dim1_dp_op_CI_CI
                                        ; -- End function
	.section	.AMDGPU.csdata,"",@progbits
; Kernel info:
; codeLenInByte = 15656
; NumSgprs: 44
; NumVgprs: 256
; ScratchSize: 0
; MemoryBound: 0
; FloatMode: 240
; IeeeMode: 1
; LDSByteSize: 17600 bytes/workgroup (compile time only)
; SGPRBlocks: 5
; VGPRBlocks: 31
; NumSGPRsForWavesPerEU: 44
; NumVGPRsForWavesPerEU: 256
; Occupancy: 5
; WaveLimiterHint : 1
; COMPUTE_PGM_RSRC2:SCRATCH_EN: 0
; COMPUTE_PGM_RSRC2:USER_SGPR: 2
; COMPUTE_PGM_RSRC2:TRAP_HANDLER: 0
; COMPUTE_PGM_RSRC2:TGID_X_EN: 1
; COMPUTE_PGM_RSRC2:TGID_Y_EN: 0
; COMPUTE_PGM_RSRC2:TGID_Z_EN: 0
; COMPUTE_PGM_RSRC2:TIDIG_COMP_CNT: 0
	.text
	.p2alignl 7, 3214868480
	.fill 96, 4, 3214868480
	.type	__hip_cuid_5157035ee0c50f99,@object ; @__hip_cuid_5157035ee0c50f99
	.section	.bss,"aw",@nobits
	.globl	__hip_cuid_5157035ee0c50f99
__hip_cuid_5157035ee0c50f99:
	.byte	0                               ; 0x0
	.size	__hip_cuid_5157035ee0c50f99, 1

	.ident	"AMD clang version 19.0.0git (https://github.com/RadeonOpenCompute/llvm-project roc-6.4.0 25133 c7fe45cf4b819c5991fe208aaa96edf142730f1d)"
	.section	".note.GNU-stack","",@progbits
	.addrsig
	.addrsig_sym __hip_cuid_5157035ee0c50f99
	.amdgpu_metadata
---
amdhsa.kernels:
  - .args:
      - .actual_access:  read_only
        .address_space:  global
        .offset:         0
        .size:           8
        .value_kind:     global_buffer
      - .actual_access:  read_only
        .address_space:  global
        .offset:         8
        .size:           8
        .value_kind:     global_buffer
      - .actual_access:  read_only
        .address_space:  global
        .offset:         16
        .size:           8
        .value_kind:     global_buffer
      - .actual_access:  read_only
        .address_space:  global
        .offset:         24
        .size:           8
        .value_kind:     global_buffer
      - .actual_access:  read_only
        .address_space:  global
        .offset:         32
        .size:           8
        .value_kind:     global_buffer
      - .offset:         40
        .size:           8
        .value_kind:     by_value
      - .address_space:  global
        .offset:         48
        .size:           8
        .value_kind:     global_buffer
      - .address_space:  global
        .offset:         56
        .size:           8
        .value_kind:     global_buffer
      - .address_space:  global
        .offset:         64
        .size:           8
        .value_kind:     global_buffer
      - .address_space:  global
        .offset:         72
        .size:           8
        .value_kind:     global_buffer
      - .offset:         80
        .size:           4
        .value_kind:     by_value
      - .address_space:  global
        .offset:         88
        .size:           8
        .value_kind:     global_buffer
      - .address_space:  global
        .offset:         96
        .size:           8
        .value_kind:     global_buffer
    .group_segment_fixed_size: 17600
    .kernarg_segment_align: 8
    .kernarg_segment_size: 104
    .language:       OpenCL C
    .language_version:
      - 2
      - 0
    .max_flat_workgroup_size: 110
    .name:           bluestein_single_fwd_len1100_dim1_dp_op_CI_CI
    .private_segment_fixed_size: 0
    .sgpr_count:     44
    .sgpr_spill_count: 0
    .symbol:         bluestein_single_fwd_len1100_dim1_dp_op_CI_CI.kd
    .uniform_work_group_size: 1
    .uses_dynamic_stack: false
    .vgpr_count:     256
    .vgpr_spill_count: 0
    .wavefront_size: 32
    .workgroup_processor_mode: 1
amdhsa.target:   amdgcn-amd-amdhsa--gfx1201
amdhsa.version:
  - 1
  - 2
...

	.end_amdgpu_metadata
